;; amdgpu-corpus repo=ROCm/rocFFT kind=compiled arch=gfx1030 opt=O3
	.text
	.amdgcn_target "amdgcn-amd-amdhsa--gfx1030"
	.amdhsa_code_object_version 6
	.protected	bluestein_single_back_len3125_dim1_dp_op_CI_CI ; -- Begin function bluestein_single_back_len3125_dim1_dp_op_CI_CI
	.globl	bluestein_single_back_len3125_dim1_dp_op_CI_CI
	.p2align	8
	.type	bluestein_single_back_len3125_dim1_dp_op_CI_CI,@function
bluestein_single_back_len3125_dim1_dp_op_CI_CI: ; @bluestein_single_back_len3125_dim1_dp_op_CI_CI
; %bb.0:
	s_load_dwordx4 s[12:15], s[4:5], 0x28
	v_mul_u32_u24_e32 v1, 0x20d, v0
	s_mov_b64 s[22:23], s[2:3]
	s_mov_b64 s[20:21], s[0:1]
	v_mov_b32_e32 v2, 0
	s_add_u32 s20, s20, s7
	v_lshrrev_b32_e32 v3, 16, v1
	s_addc_u32 s21, s21, 0
	s_mov_b32 s0, exec_lo
	v_add_nc_u32_e32 v1, s6, v3
	s_waitcnt lgkmcnt(0)
	v_cmpx_gt_u64_e64 s[12:13], v[1:2]
	s_cbranch_execz .LBB0_2
; %bb.1:
	s_clause 0x2
	s_load_dwordx4 s[8:11], s[4:5], 0x0
	s_load_dwordx4 s[16:19], s[4:5], 0x18
	s_load_dwordx2 s[12:13], s[4:5], 0x38
	v_mul_lo_u16 v2, 0x7d, v3
	v_mov_b32_e32 v172, 4
	v_sub_nc_u16 v158, v0, v2
	v_and_b32_e32 v6, 0xffff, v158
	v_and_b32_e32 v159, 0xff, v158
	v_lshlrev_b32_e32 v118, 4, v6
	v_mov_b32_e32 v14, v6
	s_waitcnt lgkmcnt(0)
	s_load_dwordx4 s[0:3], s[18:19], 0x0
	v_mov_b32_e32 v177, v14
	v_add_co_u32 v164, null, 0x7d, v14
	v_add_co_u32 v165, null, 0xfa, v14
	;; [unrolled: 1-line block ×4, first 2 shown]
	s_waitcnt lgkmcnt(0)
	v_mad_u64_u32 v[4:5], null, s2, v1, 0
	v_add_co_u32 v96, s2, s8, v118
	v_add_co_ci_u32_e64 v97, null, s9, 0, s2
	v_mov_b32_e32 v0, v5
	v_mad_u64_u32 v[2:3], null, s3, v1, v[0:1]
	v_mov_b32_e32 v5, v2
	buffer_store_dword v4, off, s[20:23], 0 ; 4-byte Folded Spill
	buffer_store_dword v5, off, s[20:23], 0 offset:4 ; 4-byte Folded Spill
	global_load_dwordx4 v[10:13], v118, s[8:9]
	s_load_dwordx4 s[4:7], s[16:17], 0x0
	s_waitcnt lgkmcnt(0)
	v_mad_u64_u32 v[2:3], null, s6, v1, 0
	s_mul_i32 s2, s5, 0x2710
	s_mul_hi_u32 s3, s4, 0x2710
	s_mul_hi_u32 s6, s4, 0xffff6b90
	s_add_i32 s2, s3, s2
	s_mul_i32 s3, s4, 0x2710
	s_sub_i32 s6, s6, s4
	v_mov_b32_e32 v0, v3
	v_mad_u64_u32 v[0:1], null, s7, v1, v[0:1]
	v_mov_b32_e32 v3, v0
	v_mad_u64_u32 v[0:1], null, s4, v6, 0
	s_mul_i32 s4, s4, 0xffff6b90
	v_mad_u64_u32 v[4:5], null, s5, v6, v[1:2]
	v_lshlrev_b64 v[2:3], 4, v[2:3]
	s_mul_i32 s5, s5, 0xffff6b90
	s_add_i32 s5, s6, s5
	s_mov_b32 s6, 0x134454ff
	s_mov_b32 s7, 0x3fee6f0e
	v_mov_b32_e32 v1, v4
	v_add_co_u32 v2, vcc_lo, s14, v2
	v_add_co_ci_u32_e32 v3, vcc_lo, s15, v3, vcc_lo
	v_lshlrev_b64 v[0:1], 4, v[0:1]
	s_mov_b32 s15, 0xbfee6f0e
	s_mov_b32 s14, s6
	v_add_co_u32 v8, vcc_lo, v2, v0
	v_add_co_ci_u32_e32 v9, vcc_lo, v3, v1, vcc_lo
	global_load_dwordx4 v[0:3], v[8:9], off
	v_add_co_u32 v8, vcc_lo, v8, s3
	v_add_co_ci_u32_e32 v9, vcc_lo, s2, v9, vcc_lo
	s_waitcnt vmcnt(1)
	buffer_store_dword v10, off, s[20:23], 0 offset:88 ; 4-byte Folded Spill
	buffer_store_dword v11, off, s[20:23], 0 offset:92 ; 4-byte Folded Spill
	;; [unrolled: 1-line block ×4, first 2 shown]
	s_waitcnt vmcnt(0)
	v_mul_f64 v[4:5], v[2:3], v[12:13]
	v_fma_f64 v[4:5], v[0:1], v[10:11], v[4:5]
	v_mul_f64 v[0:1], v[0:1], v[12:13]
	v_fma_f64 v[6:7], v[2:3], v[10:11], -v[0:1]
	global_load_dwordx4 v[0:3], v[8:9], off
	ds_write_b128 v118, v[4:7]
	v_add_co_u32 v4, vcc_lo, 0x2000, v96
	v_add_co_ci_u32_e32 v5, vcc_lo, 0, v97, vcc_lo
	v_add_co_u32 v8, vcc_lo, v8, s3
	v_add_co_ci_u32_e32 v9, vcc_lo, s2, v9, vcc_lo
	global_load_dwordx4 v[10:13], v[4:5], off offset:1808
	s_waitcnt vmcnt(0)
	buffer_store_dword v10, off, s[20:23], 0 offset:56 ; 4-byte Folded Spill
	buffer_store_dword v11, off, s[20:23], 0 offset:60 ; 4-byte Folded Spill
	buffer_store_dword v12, off, s[20:23], 0 offset:64 ; 4-byte Folded Spill
	buffer_store_dword v13, off, s[20:23], 0 offset:68 ; 4-byte Folded Spill
	v_mul_f64 v[4:5], v[2:3], v[12:13]
	v_fma_f64 v[4:5], v[0:1], v[10:11], v[4:5]
	v_mul_f64 v[0:1], v[0:1], v[12:13]
	v_fma_f64 v[6:7], v[2:3], v[10:11], -v[0:1]
	global_load_dwordx4 v[0:3], v[8:9], off
	ds_write_b128 v118, v[4:7] offset:10000
	v_add_co_u32 v4, vcc_lo, 0x4800, v96
	v_add_co_ci_u32_e32 v5, vcc_lo, 0, v97, vcc_lo
	v_add_co_u32 v8, vcc_lo, v8, s3
	v_add_co_ci_u32_e32 v9, vcc_lo, s2, v9, vcc_lo
	global_load_dwordx4 v[10:13], v[4:5], off offset:1568
	s_waitcnt vmcnt(0)
	buffer_store_dword v10, off, s[20:23], 0 offset:8 ; 4-byte Folded Spill
	buffer_store_dword v11, off, s[20:23], 0 offset:12 ; 4-byte Folded Spill
	buffer_store_dword v12, off, s[20:23], 0 offset:16 ; 4-byte Folded Spill
	buffer_store_dword v13, off, s[20:23], 0 offset:20 ; 4-byte Folded Spill
	v_mul_f64 v[4:5], v[2:3], v[12:13]
	v_fma_f64 v[4:5], v[0:1], v[10:11], v[4:5]
	v_mul_f64 v[0:1], v[0:1], v[12:13]
	v_fma_f64 v[6:7], v[2:3], v[10:11], -v[0:1]
	global_load_dwordx4 v[0:3], v[8:9], off
	ds_write_b128 v118, v[4:7] offset:20000
	;; [unrolled: 16-line block ×3, first 2 shown]
	v_add_co_u32 v4, vcc_lo, 0x9800, v96
	v_add_co_ci_u32_e32 v5, vcc_lo, 0, v97, vcc_lo
	v_add_co_u32 v8, vcc_lo, v8, s4
	v_add_co_ci_u32_e32 v9, vcc_lo, s5, v9, vcc_lo
	global_load_dwordx4 v[10:13], v[4:5], off offset:1088
	s_waitcnt vmcnt(0)
	buffer_store_dword v10, off, s[20:23], 0 offset:40 ; 4-byte Folded Spill
	buffer_store_dword v11, off, s[20:23], 0 offset:44 ; 4-byte Folded Spill
	;; [unrolled: 1-line block ×4, first 2 shown]
	v_mul_f64 v[4:5], v[2:3], v[12:13]
	v_fma_f64 v[4:5], v[0:1], v[10:11], v[4:5]
	v_mul_f64 v[0:1], v[0:1], v[12:13]
	v_fma_f64 v[6:7], v[2:3], v[10:11], -v[0:1]
	ds_write_b128 v118, v[4:7] offset:40000
	global_load_dwordx4 v[0:3], v[8:9], off
	global_load_dwordx4 v[10:13], v118, s[8:9] offset:2000
	v_add_co_u32 v8, vcc_lo, v8, s3
	v_add_co_ci_u32_e32 v9, vcc_lo, s2, v9, vcc_lo
	s_mov_b32 s8, 0x4755a5e
	s_mov_b32 s9, 0x3fe2cf23
	s_waitcnt vmcnt(0)
	buffer_store_dword v10, off, s[20:23], 0 offset:104 ; 4-byte Folded Spill
	buffer_store_dword v11, off, s[20:23], 0 offset:108 ; 4-byte Folded Spill
	buffer_store_dword v12, off, s[20:23], 0 offset:112 ; 4-byte Folded Spill
	buffer_store_dword v13, off, s[20:23], 0 offset:116 ; 4-byte Folded Spill
	v_mul_f64 v[4:5], v[2:3], v[12:13]
	v_fma_f64 v[4:5], v[0:1], v[10:11], v[4:5]
	v_mul_f64 v[0:1], v[0:1], v[12:13]
	v_fma_f64 v[6:7], v[2:3], v[10:11], -v[0:1]
	global_load_dwordx4 v[0:3], v[8:9], off
	ds_write_b128 v118, v[4:7] offset:2000
	v_add_co_u32 v4, vcc_lo, 0x2800, v96
	v_add_co_ci_u32_e32 v5, vcc_lo, 0, v97, vcc_lo
	v_add_co_u32 v8, vcc_lo, v8, s3
	v_add_co_ci_u32_e32 v9, vcc_lo, s2, v9, vcc_lo
	global_load_dwordx4 v[10:13], v[4:5], off offset:1760
	s_waitcnt vmcnt(0)
	buffer_store_dword v10, off, s[20:23], 0 offset:136 ; 4-byte Folded Spill
	buffer_store_dword v11, off, s[20:23], 0 offset:140 ; 4-byte Folded Spill
	buffer_store_dword v12, off, s[20:23], 0 offset:144 ; 4-byte Folded Spill
	buffer_store_dword v13, off, s[20:23], 0 offset:148 ; 4-byte Folded Spill
	v_mul_f64 v[4:5], v[2:3], v[12:13]
	v_fma_f64 v[4:5], v[0:1], v[10:11], v[4:5]
	v_mul_f64 v[0:1], v[0:1], v[12:13]
	v_fma_f64 v[6:7], v[2:3], v[10:11], -v[0:1]
	global_load_dwordx4 v[0:3], v[8:9], off
	ds_write_b128 v118, v[4:7] offset:12000
	v_add_co_u32 v4, vcc_lo, 0x5000, v96
	v_add_co_ci_u32_e32 v5, vcc_lo, 0, v97, vcc_lo
	v_add_co_u32 v8, vcc_lo, v8, s3
	v_add_co_ci_u32_e32 v9, vcc_lo, s2, v9, vcc_lo
	global_load_dwordx4 v[10:13], v[4:5], off offset:1520
	;; [unrolled: 16-line block ×14, first 2 shown]
	s_mov_b32 s5, 0xbfe2cf23
	s_mov_b32 s4, s8
	s_waitcnt vmcnt(0)
	buffer_store_dword v10, off, s[20:23], 0 offset:392 ; 4-byte Folded Spill
	buffer_store_dword v11, off, s[20:23], 0 offset:396 ; 4-byte Folded Spill
	;; [unrolled: 1-line block ×5, first 2 shown]
	v_mul_f64 v[4:5], v[2:3], v[12:13]
	v_fma_f64 v[4:5], v[0:1], v[10:11], v[4:5]
	v_mul_f64 v[0:1], v[0:1], v[12:13]
	v_fma_f64 v[6:7], v[2:3], v[10:11], -v[0:1]
	global_load_dwordx4 v[0:3], v[8:9], off
	ds_write_b128 v118, v[4:7] offset:46000
	v_add_co_u32 v4, vcc_lo, 0x1800, v96
	v_add_co_ci_u32_e32 v5, vcc_lo, 0, v97, vcc_lo
	v_add_co_u32 v8, vcc_lo, v8, s3
	v_add_co_ci_u32_e32 v9, vcc_lo, s2, v9, vcc_lo
	global_load_dwordx4 v[10:13], v[4:5], off offset:1856
	s_waitcnt vmcnt(0)
	buffer_store_dword v10, off, s[20:23], 0 offset:184 ; 4-byte Folded Spill
	buffer_store_dword v11, off, s[20:23], 0 offset:188 ; 4-byte Folded Spill
	buffer_store_dword v12, off, s[20:23], 0 offset:192 ; 4-byte Folded Spill
	buffer_store_dword v13, off, s[20:23], 0 offset:196 ; 4-byte Folded Spill
	v_mul_f64 v[4:5], v[2:3], v[12:13]
	v_fma_f64 v[4:5], v[0:1], v[10:11], v[4:5]
	v_mul_f64 v[0:1], v[0:1], v[12:13]
	v_fma_f64 v[6:7], v[2:3], v[10:11], -v[0:1]
	global_load_dwordx4 v[0:3], v[8:9], off
	ds_write_b128 v118, v[4:7] offset:8000
	v_add_co_u32 v4, vcc_lo, 0x4000, v96
	v_add_co_ci_u32_e32 v5, vcc_lo, 0, v97, vcc_lo
	v_add_co_u32 v8, vcc_lo, v8, s3
	v_add_co_ci_u32_e32 v9, vcc_lo, s2, v9, vcc_lo
	global_load_dwordx4 v[10:13], v[4:5], off offset:1616
	s_waitcnt vmcnt(0)
	buffer_store_dword v10, off, s[20:23], 0 offset:200 ; 4-byte Folded Spill
	buffer_store_dword v11, off, s[20:23], 0 offset:204 ; 4-byte Folded Spill
	buffer_store_dword v12, off, s[20:23], 0 offset:208 ; 4-byte Folded Spill
	buffer_store_dword v13, off, s[20:23], 0 offset:212 ; 4-byte Folded Spill
	v_mul_f64 v[4:5], v[2:3], v[12:13]
	v_fma_f64 v[4:5], v[0:1], v[10:11], v[4:5]
	v_mul_f64 v[0:1], v[0:1], v[12:13]
	v_fma_f64 v[6:7], v[2:3], v[10:11], -v[0:1]
	global_load_dwordx4 v[0:3], v[8:9], off
	ds_write_b128 v118, v[4:7] offset:18000
	v_add_co_u32 v4, vcc_lo, 0x6800, v96
	v_add_co_ci_u32_e32 v5, vcc_lo, 0, v97, vcc_lo
	v_add_co_u32 v8, vcc_lo, v8, s3
	v_add_co_ci_u32_e32 v9, vcc_lo, s2, v9, vcc_lo
	global_load_dwordx4 v[10:13], v[4:5], off offset:1376
	s_waitcnt vmcnt(0)
	buffer_store_dword v10, off, s[20:23], 0 offset:152 ; 4-byte Folded Spill
	buffer_store_dword v11, off, s[20:23], 0 offset:156 ; 4-byte Folded Spill
	buffer_store_dword v12, off, s[20:23], 0 offset:160 ; 4-byte Folded Spill
	buffer_store_dword v13, off, s[20:23], 0 offset:164 ; 4-byte Folded Spill
	v_mul_f64 v[4:5], v[2:3], v[12:13]
	v_fma_f64 v[4:5], v[0:1], v[10:11], v[4:5]
	v_mul_f64 v[0:1], v[0:1], v[12:13]
	v_fma_f64 v[6:7], v[2:3], v[10:11], -v[0:1]
	global_load_dwordx4 v[0:3], v[8:9], off
	ds_write_b128 v118, v[4:7] offset:28000
	v_add_co_u32 v4, vcc_lo, 0x9000, v96
	v_add_co_ci_u32_e32 v5, vcc_lo, 0, v97, vcc_lo
	global_load_dwordx4 v[10:13], v[4:5], off offset:1136
	s_waitcnt vmcnt(0)
	buffer_store_dword v10, off, s[20:23], 0 offset:120 ; 4-byte Folded Spill
	buffer_store_dword v11, off, s[20:23], 0 offset:124 ; 4-byte Folded Spill
	;; [unrolled: 1-line block ×4, first 2 shown]
	v_mul_f64 v[4:5], v[2:3], v[12:13]
	v_fma_f64 v[4:5], v[0:1], v[10:11], v[4:5]
	v_mul_f64 v[0:1], v[0:1], v[12:13]
	v_fma_f64 v[6:7], v[2:3], v[10:11], -v[0:1]
	v_add_co_u32 v0, vcc_lo, v8, s3
	v_add_co_ci_u32_e32 v1, vcc_lo, s2, v9, vcc_lo
	s_mov_b32 s2, 0x372fe950
	s_mov_b32 s3, 0x3fd3c6ef
	global_load_dwordx4 v[0:3], v[0:1], off
	ds_write_b128 v118, v[4:7] offset:38000
	v_add_co_u32 v4, vcc_lo, 0xb800, v96
	v_add_co_ci_u32_e32 v5, vcc_lo, 0, v97, vcc_lo
	global_load_dwordx4 v[4:7], v[4:5], off offset:896
	s_waitcnt vmcnt(0)
	v_mov_b32_e32 v9, v7
	v_mov_b32_e32 v8, v6
	;; [unrolled: 1-line block ×4, first 2 shown]
	v_mul_f64 v[4:5], v[2:3], v[8:9]
	v_fma_f64 v[4:5], v[0:1], v[6:7], v[4:5]
	v_mul_f64 v[0:1], v[0:1], v[8:9]
	buffer_store_dword v6, off, s[20:23], 0 offset:72 ; 4-byte Folded Spill
	buffer_store_dword v7, off, s[20:23], 0 offset:76 ; 4-byte Folded Spill
	;; [unrolled: 1-line block ×4, first 2 shown]
	v_fma_f64 v[6:7], v[2:3], v[6:7], -v[0:1]
	ds_write_b128 v118, v[4:7] offset:48000
	s_waitcnt lgkmcnt(0)
	s_waitcnt_vscnt null, 0x0
	s_barrier
	buffer_gl0_inv
	ds_read_b128 v[16:19], v118
	ds_read_b128 v[36:39], v118 offset:10000
	ds_read_b128 v[40:43], v118 offset:20000
	;; [unrolled: 1-line block ×24, first 2 shown]
	s_waitcnt lgkmcnt(21)
	v_add_f64 v[2:3], v[40:41], v[44:45]
	s_waitcnt lgkmcnt(20)
	v_add_f64 v[6:7], v[38:39], -v[54:55]
	v_add_f64 v[10:11], v[42:43], -v[46:47]
	;; [unrolled: 1-line block ×4, first 2 shown]
	v_add_f64 v[0:1], v[16:17], v[36:37]
	v_add_f64 v[26:27], v[44:45], -v[52:53]
	s_waitcnt lgkmcnt(0)
	s_barrier
	buffer_gl0_inv
	v_fma_f64 v[2:3], v[2:3], -0.5, v[16:17]
	v_add_f64 v[8:9], v[8:9], v[24:25]
	v_add_f64 v[24:25], v[40:41], -v[36:37]
	v_add_f64 v[0:1], v[0:1], v[40:41]
	v_fma_f64 v[4:5], v[6:7], s[6:7], v[2:3]
	v_fma_f64 v[2:3], v[6:7], s[14:15], v[2:3]
	v_add_f64 v[24:25], v[24:25], v[26:27]
	v_add_f64 v[26:27], v[36:37], -v[52:53]
	v_add_f64 v[0:1], v[0:1], v[44:45]
	v_fma_f64 v[4:5], v[10:11], s[8:9], v[4:5]
	v_fma_f64 v[2:3], v[10:11], s[4:5], v[2:3]
	v_add_f64 v[0:1], v[0:1], v[52:53]
	v_fma_f64 v[4:5], v[8:9], s[2:3], v[4:5]
	v_fma_f64 v[8:9], v[8:9], s[2:3], v[2:3]
	v_add_f64 v[2:3], v[36:37], v[52:53]
	v_add_f64 v[36:37], v[40:41], -v[44:45]
	v_add_f64 v[40:41], v[38:39], -v[42:43]
	;; [unrolled: 1-line block ×4, first 2 shown]
	v_fma_f64 v[2:3], v[2:3], -0.5, v[16:17]
	v_add_f64 v[40:41], v[40:41], v[44:45]
	v_add_f64 v[44:45], v[76:77], -v[84:85]
	v_fma_f64 v[16:17], v[10:11], s[14:15], v[2:3]
	v_fma_f64 v[2:3], v[10:11], s[6:7], v[2:3]
	v_add_f64 v[52:53], v[44:45], v[52:53]
	v_fma_f64 v[16:17], v[6:7], s[8:9], v[16:17]
	v_fma_f64 v[2:3], v[6:7], s[4:5], v[2:3]
	v_add_f64 v[6:7], v[42:43], v[46:47]
	v_fma_f64 v[16:17], v[24:25], s[2:3], v[16:17]
	v_fma_f64 v[24:25], v[24:25], s[2:3], v[2:3]
	v_fma_f64 v[10:11], v[6:7], -0.5, v[18:19]
	v_add_f64 v[2:3], v[18:19], v[38:39]
	v_fma_f64 v[6:7], v[26:27], s[14:15], v[10:11]
	v_fma_f64 v[10:11], v[26:27], s[6:7], v[10:11]
	v_add_f64 v[2:3], v[2:3], v[42:43]
	v_fma_f64 v[6:7], v[36:37], s[4:5], v[6:7]
	v_fma_f64 v[10:11], v[36:37], s[8:9], v[10:11]
	;; [unrolled: 3-line block ×3, first 2 shown]
	v_add_f64 v[40:41], v[38:39], v[54:55]
	v_add_f64 v[38:39], v[42:43], -v[38:39]
	v_add_f64 v[42:43], v[46:47], -v[54:55]
	;; [unrolled: 1-line block ×3, first 2 shown]
	v_add_f64 v[2:3], v[2:3], v[54:55]
	v_add_f64 v[54:55], v[88:89], -v[114:115]
	v_fma_f64 v[40:41], v[40:41], -0.5, v[18:19]
	v_add_f64 v[38:39], v[38:39], v[42:43]
	v_add_f64 v[42:43], v[78:79], -v[116:117]
	v_fma_f64 v[18:19], v[36:37], s[6:7], v[40:41]
	v_fma_f64 v[36:37], v[36:37], s[14:15], v[40:41]
	;; [unrolled: 1-line block ×4, first 2 shown]
	v_add_f64 v[36:37], v[48:49], v[76:77]
	v_fma_f64 v[18:19], v[38:39], s[2:3], v[18:19]
	v_fma_f64 v[26:27], v[38:39], s[2:3], v[26:27]
	v_add_f64 v[38:39], v[84:85], v[88:89]
	v_add_f64 v[36:37], v[36:37], v[84:85]
	v_fma_f64 v[38:39], v[38:39], -0.5, v[48:49]
	v_add_f64 v[36:37], v[36:37], v[88:89]
	v_fma_f64 v[40:41], v[42:43], s[6:7], v[38:39]
	v_fma_f64 v[38:39], v[42:43], s[14:15], v[38:39]
	v_add_f64 v[36:37], v[36:37], v[114:115]
	v_fma_f64 v[40:41], v[46:47], s[8:9], v[40:41]
	v_fma_f64 v[38:39], v[46:47], s[4:5], v[38:39]
	;; [unrolled: 1-line block ×4, first 2 shown]
	v_add_f64 v[38:39], v[76:77], v[114:115]
	v_add_f64 v[52:53], v[84:85], -v[76:77]
	v_fma_f64 v[38:39], v[38:39], -0.5, v[48:49]
	v_add_f64 v[52:53], v[52:53], v[54:55]
	v_add_f64 v[54:55], v[76:77], -v[114:115]
	v_add_f64 v[76:77], v[84:85], -v[88:89]
	;; [unrolled: 1-line block ×5, first 2 shown]
	v_fma_f64 v[48:49], v[46:47], s[14:15], v[38:39]
	v_fma_f64 v[38:39], v[46:47], s[6:7], v[38:39]
	v_add_f64 v[84:85], v[84:85], v[88:89]
	v_add_f64 v[88:89], v[98:99], -v[102:103]
	v_fma_f64 v[48:49], v[42:43], s[8:9], v[48:49]
	v_fma_f64 v[38:39], v[42:43], s[4:5], v[38:39]
	v_add_f64 v[42:43], v[86:87], v[90:91]
	v_add_f64 v[114:115], v[88:89], v[114:115]
	v_fma_f64 v[48:49], v[52:53], s[2:3], v[48:49]
	v_fma_f64 v[52:53], v[52:53], s[2:3], v[38:39]
	v_fma_f64 v[42:43], v[42:43], -0.5, v[50:51]
	v_add_f64 v[38:39], v[50:51], v[78:79]
	v_fma_f64 v[46:47], v[54:55], s[14:15], v[42:43]
	v_fma_f64 v[42:43], v[54:55], s[6:7], v[42:43]
	v_add_f64 v[38:39], v[38:39], v[86:87]
	v_fma_f64 v[46:47], v[76:77], s[4:5], v[46:47]
	v_fma_f64 v[42:43], v[76:77], s[8:9], v[42:43]
	;; [unrolled: 3-line block ×3, first 2 shown]
	v_add_f64 v[84:85], v[78:79], v[116:117]
	v_add_f64 v[78:79], v[86:87], -v[78:79]
	v_add_f64 v[86:87], v[90:91], -v[116:117]
	;; [unrolled: 1-line block ×3, first 2 shown]
	v_add_f64 v[38:39], v[38:39], v[116:117]
	v_add_f64 v[116:117], v[106:107], -v[110:111]
	v_fma_f64 v[84:85], v[84:85], -0.5, v[50:51]
	v_add_f64 v[78:79], v[78:79], v[86:87]
	v_add_f64 v[86:87], v[100:101], -v[112:113]
	v_fma_f64 v[50:51], v[76:77], s[6:7], v[84:85]
	v_fma_f64 v[76:77], v[76:77], s[14:15], v[84:85]
	;; [unrolled: 1-line block ×4, first 2 shown]
	v_add_f64 v[76:77], v[92:93], v[98:99]
	v_fma_f64 v[50:51], v[78:79], s[2:3], v[50:51]
	v_fma_f64 v[54:55], v[78:79], s[2:3], v[54:55]
	v_add_f64 v[78:79], v[102:103], v[106:107]
	v_add_f64 v[76:77], v[76:77], v[102:103]
	v_fma_f64 v[78:79], v[78:79], -0.5, v[92:93]
	v_add_f64 v[76:77], v[76:77], v[106:107]
	v_fma_f64 v[84:85], v[86:87], s[6:7], v[78:79]
	v_fma_f64 v[78:79], v[86:87], s[14:15], v[78:79]
	v_add_f64 v[76:77], v[76:77], v[110:111]
	v_fma_f64 v[84:85], v[90:91], s[8:9], v[84:85]
	v_fma_f64 v[78:79], v[90:91], s[4:5], v[78:79]
	;; [unrolled: 1-line block ×4, first 2 shown]
	v_add_f64 v[78:79], v[98:99], v[110:111]
	v_add_f64 v[114:115], v[102:103], -v[98:99]
	v_add_f64 v[98:99], v[98:99], -v[110:111]
	v_add_f64 v[102:103], v[102:103], -v[106:107]
	v_add_f64 v[106:107], v[100:101], -v[104:105]
	v_add_f64 v[110:111], v[112:113], -v[108:109]
	v_fma_f64 v[78:79], v[78:79], -0.5, v[92:93]
	v_add_f64 v[114:115], v[114:115], v[116:117]
	v_add_f64 v[106:107], v[106:107], v[110:111]
	v_add_f64 v[110:111], v[64:65], -v[60:61]
	v_fma_f64 v[92:93], v[90:91], s[14:15], v[78:79]
	v_fma_f64 v[78:79], v[90:91], s[6:7], v[78:79]
	;; [unrolled: 1-line block ×4, first 2 shown]
	v_add_f64 v[86:87], v[104:105], v[108:109]
	v_fma_f64 v[92:93], v[114:115], s[2:3], v[92:93]
	v_fma_f64 v[119:120], v[114:115], s[2:3], v[78:79]
	v_fma_f64 v[86:87], v[86:87], -0.5, v[94:95]
	v_add_f64 v[78:79], v[94:95], v[100:101]
	v_fma_f64 v[90:91], v[98:99], s[14:15], v[86:87]
	v_fma_f64 v[86:87], v[98:99], s[6:7], v[86:87]
	v_add_f64 v[78:79], v[78:79], v[104:105]
	v_fma_f64 v[90:91], v[102:103], s[4:5], v[90:91]
	v_fma_f64 v[86:87], v[102:103], s[8:9], v[86:87]
	;; [unrolled: 3-line block ×3, first 2 shown]
	v_add_f64 v[106:107], v[100:101], v[112:113]
	v_add_f64 v[100:101], v[104:105], -v[100:101]
	v_add_f64 v[104:105], v[108:109], -v[112:113]
	;; [unrolled: 1-line block ×3, first 2 shown]
	v_add_f64 v[78:79], v[78:79], v[112:113]
	v_add_f64 v[112:113], v[60:61], -v[64:65]
	v_fma_f64 v[106:107], v[106:107], -0.5, v[94:95]
	v_add_f64 v[100:101], v[100:101], v[104:105]
	v_add_f64 v[110:111], v[108:109], v[110:111]
	v_fma_f64 v[94:95], v[102:103], s[6:7], v[106:107]
	v_fma_f64 v[102:103], v[102:103], s[14:15], v[106:107]
	v_add_f64 v[106:107], v[74:75], -v[62:63]
	v_fma_f64 v[94:95], v[98:99], s[4:5], v[94:95]
	v_fma_f64 v[98:99], v[98:99], s[8:9], v[102:103]
	v_add_f64 v[102:103], v[70:71], -v[66:67]
	v_fma_f64 v[94:95], v[100:101], s[2:3], v[94:95]
	v_fma_f64 v[121:122], v[100:101], s[2:3], v[98:99]
	v_add_f64 v[98:99], v[80:81], v[68:69]
	v_add_f64 v[98:99], v[98:99], v[72:73]
	;; [unrolled: 1-line block ×5, first 2 shown]
	v_add_f64 v[60:61], v[72:73], -v[60:61]
	v_fma_f64 v[98:99], v[98:99], -0.5, v[80:81]
	v_fma_f64 v[104:105], v[102:103], s[6:7], v[98:99]
	v_fma_f64 v[98:99], v[102:103], s[14:15], v[98:99]
	;; [unrolled: 1-line block ×6, first 2 shown]
	v_add_f64 v[98:99], v[68:69], v[64:65]
	v_add_f64 v[110:111], v[72:73], -v[68:69]
	v_add_f64 v[64:65], v[68:69], -v[64:65]
	;; [unrolled: 1-line block ×3, first 2 shown]
	v_fma_f64 v[98:99], v[98:99], -0.5, v[80:81]
	v_add_f64 v[110:111], v[110:111], v[112:113]
	v_fma_f64 v[80:81], v[106:107], s[14:15], v[98:99]
	v_fma_f64 v[98:99], v[106:107], s[6:7], v[98:99]
	v_add_f64 v[106:107], v[66:67], -v[62:63]
	v_fma_f64 v[80:81], v[102:103], s[8:9], v[80:81]
	v_fma_f64 v[98:99], v[102:103], s[4:5], v[98:99]
	v_add_f64 v[72:73], v[72:73], v[106:107]
	v_fma_f64 v[80:81], v[110:111], s[2:3], v[80:81]
	v_fma_f64 v[112:113], v[110:111], s[2:3], v[98:99]
	v_add_f64 v[98:99], v[82:83], v[70:71]
	v_add_f64 v[98:99], v[98:99], v[74:75]
	;; [unrolled: 1-line block ×5, first 2 shown]
	v_add_f64 v[62:63], v[62:63], -v[66:67]
	v_fma_f64 v[98:99], v[98:99], -0.5, v[82:83]
	v_fma_f64 v[68:69], v[64:65], s[14:15], v[98:99]
	v_fma_f64 v[68:69], v[60:61], s[4:5], v[68:69]
	;; [unrolled: 1-line block ×6, first 2 shown]
	v_add_f64 v[68:69], v[70:71], v[66:67]
	v_add_f64 v[70:71], v[74:75], -v[70:71]
	v_add_f64 v[66:67], v[30:31], -v[22:23]
	;; [unrolled: 1-line block ×3, first 2 shown]
	v_fma_f64 v[68:69], v[68:69], -0.5, v[82:83]
	v_add_f64 v[62:63], v[70:71], v[62:63]
	v_add_f64 v[70:71], v[34:35], -v[14:15]
	v_fma_f64 v[72:73], v[60:61], s[6:7], v[68:69]
	v_fma_f64 v[60:61], v[60:61], s[14:15], v[68:69]
	v_add_f64 v[68:69], v[28:29], -v[32:33]
	v_fma_f64 v[72:73], v[64:65], s[4:5], v[72:73]
	v_fma_f64 v[60:61], v[64:65], s[8:9], v[60:61]
	;; [unrolled: 1-line block ×4, first 2 shown]
	v_add_f64 v[62:63], v[32:33], v[12:13]
	v_add_f64 v[72:73], v[20:21], -v[12:13]
	v_add_f64 v[60:61], v[56:57], v[28:29]
	v_fma_f64 v[62:63], v[62:63], -0.5, v[56:57]
	v_add_f64 v[72:73], v[68:69], v[72:73]
	v_add_f64 v[60:61], v[60:61], v[32:33]
	v_fma_f64 v[64:65], v[66:67], s[6:7], v[62:63]
	v_fma_f64 v[62:63], v[66:67], s[14:15], v[62:63]
	v_add_f64 v[60:61], v[60:61], v[12:13]
	v_add_f64 v[12:13], v[32:33], -v[12:13]
	v_fma_f64 v[64:65], v[70:71], s[8:9], v[64:65]
	v_fma_f64 v[62:63], v[70:71], s[4:5], v[62:63]
	v_add_f64 v[60:61], v[60:61], v[20:21]
	v_fma_f64 v[68:69], v[72:73], s[2:3], v[64:65]
	v_fma_f64 v[64:65], v[72:73], s[2:3], v[62:63]
	v_add_f64 v[62:63], v[28:29], v[20:21]
	v_add_f64 v[20:21], v[28:29], -v[20:21]
	v_add_f64 v[72:73], v[32:33], -v[28:29]
	;; [unrolled: 1-line block ×3, first 2 shown]
	v_fma_f64 v[62:63], v[62:63], -0.5, v[56:57]
	v_add_f64 v[72:73], v[72:73], v[74:75]
	v_fma_f64 v[56:57], v[70:71], s[14:15], v[62:63]
	v_fma_f64 v[62:63], v[70:71], s[6:7], v[62:63]
	v_add_f64 v[70:71], v[22:23], -v[14:15]
	v_fma_f64 v[56:57], v[66:67], s[8:9], v[56:57]
	v_fma_f64 v[62:63], v[66:67], s[4:5], v[62:63]
	v_add_f64 v[66:67], v[34:35], v[14:15]
	v_add_f64 v[32:33], v[32:33], v[70:71]
	v_fma_f64 v[56:57], v[72:73], s[2:3], v[56:57]
	v_fma_f64 v[72:73], v[72:73], s[2:3], v[62:63]
	v_fma_f64 v[66:67], v[66:67], -0.5, v[58:59]
	v_add_f64 v[62:63], v[58:59], v[30:31]
	v_fma_f64 v[28:29], v[20:21], s[14:15], v[66:67]
	v_add_f64 v[62:63], v[62:63], v[34:35]
	v_fma_f64 v[28:29], v[12:13], s[4:5], v[28:29]
	v_add_f64 v[62:63], v[62:63], v[14:15]
	v_add_f64 v[14:15], v[14:15], -v[22:23]
	v_fma_f64 v[70:71], v[32:33], s[2:3], v[28:29]
	v_fma_f64 v[28:29], v[20:21], s[6:7], v[66:67]
	v_add_f64 v[62:63], v[62:63], v[22:23]
	v_fma_f64 v[28:29], v[12:13], s[8:9], v[28:29]
	v_fma_f64 v[66:67], v[32:33], s[2:3], v[28:29]
	v_add_f64 v[28:29], v[30:31], v[22:23]
	v_add_f64 v[30:31], v[34:35], -v[30:31]
	v_fma_f64 v[28:29], v[28:29], -0.5, v[58:59]
	v_add_f64 v[14:15], v[30:31], v[14:15]
	v_fma_f64 v[32:33], v[12:13], s[6:7], v[28:29]
	v_fma_f64 v[12:13], v[12:13], s[14:15], v[28:29]
	;; [unrolled: 1-line block ×6, first 2 shown]
	v_mul_lo_u16 v12, v158, 5
	v_lshlrev_b32_sdwa v12, v172, v12 dst_sel:DWORD dst_unused:UNUSED_PAD src0_sel:DWORD src1_sel:WORD_0
	buffer_store_dword v12, off, s[20:23], 0 offset:628 ; 4-byte Folded Spill
	ds_write_b128 v12, v[0:3]
	ds_write_b128 v12, v[4:7] offset:16
	ds_write_b128 v12, v[16:19] offset:32
	ds_write_b128 v12, v[24:27] offset:48
	ds_write_b128 v12, v[8:11] offset:64
	v_mul_u32_u24_e32 v0, 5, v164
	v_mul_lo_u16 v24, 0xcd, v159
	v_lshlrev_b32_e32 v0, 4, v0
	v_lshrrev_b16 v160, 10, v24
	buffer_store_dword v0, off, s[20:23], 0 offset:560 ; 4-byte Folded Spill
	ds_write_b128 v0, v[36:39]
	ds_write_b128 v0, v[44:47] offset:16
	ds_write_b128 v0, v[48:51] offset:32
	;; [unrolled: 1-line block ×4, first 2 shown]
	v_mul_u32_u24_e32 v0, 5, v165
	v_mul_lo_u16 v24, v160, 5
	v_lshlrev_b32_e32 v0, 4, v0
	v_sub_nc_u16 v24, v158, v24
	buffer_store_dword v0, off, s[20:23], 0 offset:488 ; 4-byte Folded Spill
	ds_write_b128 v0, v[76:79]
	ds_write_b128 v0, v[88:91] offset:16
	ds_write_b128 v0, v[92:95] offset:32
	;; [unrolled: 1-line block ×4, first 2 shown]
	v_mul_u32_u24_e32 v0, 5, v166
	v_and_b32_e32 v161, 0xff, v24
	v_lshlrev_b32_e32 v0, 4, v0
	v_lshlrev_b32_e32 v24, 6, v161
	buffer_store_dword v0, off, s[20:23], 0 offset:416 ; 4-byte Folded Spill
	ds_write_b128 v0, v[100:103]
	ds_write_b128 v0, v[108:111] offset:16
	ds_write_b128 v0, v[80:83] offset:32
	;; [unrolled: 1-line block ×4, first 2 shown]
	v_mul_u32_u24_e32 v0, 5, v167
	v_lshlrev_b32_e32 v0, 4, v0
	buffer_store_dword v0, off, s[20:23], 0 offset:412 ; 4-byte Folded Spill
	ds_write_b128 v0, v[60:63]
	ds_write_b128 v0, v[68:71] offset:16
	ds_write_b128 v0, v[56:59] offset:32
	;; [unrolled: 1-line block ×4, first 2 shown]
	s_waitcnt lgkmcnt(0)
	s_waitcnt_vscnt null, 0x0
	s_barrier
	buffer_gl0_inv
	ds_read_b128 v[26:29], v118
	ds_read_b128 v[86:89], v118 offset:10000
	ds_read_b128 v[90:93], v118 offset:20000
	;; [unrolled: 1-line block ×24, first 2 shown]
	global_load_dwordx4 v[106:109], v24, s[10:11] offset:48
	s_waitcnt vmcnt(0)
	buffer_store_dword v106, off, s[20:23], 0 offset:420 ; 4-byte Folded Spill
	buffer_store_dword v107, off, s[20:23], 0 offset:424 ; 4-byte Folded Spill
	buffer_store_dword v108, off, s[20:23], 0 offset:428 ; 4-byte Folded Spill
	buffer_store_dword v109, off, s[20:23], 0 offset:432 ; 4-byte Folded Spill
	global_load_dwordx4 v[110:113], v24, s[10:11] offset:32
	s_waitcnt vmcnt(0)
	buffer_store_dword v110, off, s[20:23], 0 offset:436 ; 4-byte Folded Spill
	buffer_store_dword v111, off, s[20:23], 0 offset:440 ; 4-byte Folded Spill
	buffer_store_dword v112, off, s[20:23], 0 offset:444 ; 4-byte Folded Spill
	buffer_store_dword v113, off, s[20:23], 0 offset:448 ; 4-byte Folded Spill
	;; [unrolled: 6-line block ×3, first 2 shown]
	global_load_dwordx4 v[119:122], v24, s[10:11]
	s_waitcnt vmcnt(0)
	buffer_store_dword v119, off, s[20:23], 0 offset:468 ; 4-byte Folded Spill
	buffer_store_dword v120, off, s[20:23], 0 offset:472 ; 4-byte Folded Spill
	;; [unrolled: 1-line block ×4, first 2 shown]
	s_waitcnt lgkmcnt(23)
	v_mul_f64 v[24:25], v[88:89], v[121:122]
	v_fma_f64 v[142:143], v[86:87], v[119:120], -v[24:25]
	v_mul_f64 v[24:25], v[86:87], v[121:122]
	v_fma_f64 v[122:123], v[88:89], v[119:120], v[24:25]
	s_waitcnt lgkmcnt(22)
	v_mul_f64 v[24:25], v[92:93], v[116:117]
	v_and_b32_e32 v119, 0xff, v164
	v_fma_f64 v[148:149], v[90:91], v[114:115], -v[24:25]
	v_mul_f64 v[24:25], v[90:91], v[116:117]
	v_fma_f64 v[124:125], v[92:93], v[114:115], v[24:25]
	s_waitcnt lgkmcnt(21)
	v_mul_f64 v[24:25], v[100:101], v[112:113]
	v_fma_f64 v[150:151], v[98:99], v[110:111], -v[24:25]
	v_mul_f64 v[24:25], v[98:99], v[112:113]
	v_fma_f64 v[128:129], v[100:101], v[110:111], v[24:25]
	s_waitcnt lgkmcnt(20)
	v_mul_f64 v[24:25], v[104:105], v[108:109]
	v_fma_f64 v[156:157], v[102:103], v[106:107], -v[24:25]
	v_mul_f64 v[24:25], v[102:103], v[108:109]
	v_fma_f64 v[120:121], v[104:105], v[106:107], v[24:25]
	v_mul_lo_u16 v24, 0xcd, v119
	v_lshrrev_b16 v162, 10, v24
	v_mul_lo_u16 v24, v162, 5
	v_sub_nc_u16 v24, v164, v24
	v_and_b32_e32 v163, 0xff, v24
	v_lshlrev_b32_e32 v24, 6, v163
	global_load_dwordx4 v[86:89], v24, s[10:11] offset:48
	s_waitcnt vmcnt(0)
	buffer_store_dword v86, off, s[20:23], 0 offset:492 ; 4-byte Folded Spill
	buffer_store_dword v87, off, s[20:23], 0 offset:496 ; 4-byte Folded Spill
	buffer_store_dword v88, off, s[20:23], 0 offset:500 ; 4-byte Folded Spill
	buffer_store_dword v89, off, s[20:23], 0 offset:504 ; 4-byte Folded Spill
	global_load_dwordx4 v[90:93], v24, s[10:11] offset:32
	s_waitcnt vmcnt(0)
	buffer_store_dword v90, off, s[20:23], 0 offset:508 ; 4-byte Folded Spill
	buffer_store_dword v91, off, s[20:23], 0 offset:512 ; 4-byte Folded Spill
	buffer_store_dword v92, off, s[20:23], 0 offset:516 ; 4-byte Folded Spill
	buffer_store_dword v93, off, s[20:23], 0 offset:520 ; 4-byte Folded Spill
	;; [unrolled: 6-line block ×3, first 2 shown]
	global_load_dwordx4 v[102:105], v24, s[10:11]
	s_waitcnt vmcnt(0)
	buffer_store_dword v102, off, s[20:23], 0 offset:540 ; 4-byte Folded Spill
	buffer_store_dword v103, off, s[20:23], 0 offset:544 ; 4-byte Folded Spill
	;; [unrolled: 1-line block ×4, first 2 shown]
	s_waitcnt lgkmcnt(18)
	v_mul_f64 v[24:25], v[84:85], v[104:105]
	v_fma_f64 v[126:127], v[82:83], v[102:103], -v[24:25]
	v_mul_f64 v[24:25], v[82:83], v[104:105]
	v_fma_f64 v[110:111], v[84:85], v[102:103], v[24:25]
	s_waitcnt lgkmcnt(17)
	v_mul_f64 v[24:25], v[80:81], v[100:101]
	v_mov_b32_e32 v84, 0xcccd
	v_fma_f64 v[132:133], v[78:79], v[98:99], -v[24:25]
	v_mul_f64 v[24:25], v[78:79], v[100:101]
	v_fma_f64 v[112:113], v[80:81], v[98:99], v[24:25]
	s_waitcnt lgkmcnt(16)
	v_mul_f64 v[24:25], v[76:77], v[92:93]
	v_fma_f64 v[134:135], v[74:75], v[90:91], -v[24:25]
	v_mul_f64 v[24:25], v[74:75], v[92:93]
	v_fma_f64 v[76:77], v[76:77], v[90:91], v[24:25]
	s_waitcnt lgkmcnt(15)
	v_mul_f64 v[24:25], v[72:73], v[88:89]
	v_fma_f64 v[140:141], v[70:71], v[86:87], -v[24:25]
	v_mul_f64 v[24:25], v[70:71], v[88:89]
	v_fma_f64 v[80:81], v[72:73], v[86:87], v[24:25]
	v_mul_u32_u24_sdwa v24, v165, v84 dst_sel:DWORD dst_unused:UNUSED_PAD src0_sel:WORD_0 src1_sel:DWORD
	v_lshrrev_b32_e32 v168, 18, v24
	v_mul_lo_u16 v24, v168, 5
	v_sub_nc_u16 v169, v165, v24
	v_lshlrev_b16 v24, 2, v169
	v_lshlrev_b32_sdwa v24, v172, v24 dst_sel:DWORD dst_unused:UNUSED_PAD src0_sel:DWORD src1_sel:WORD_0
	global_load_dwordx4 v[85:88], v24, s[10:11] offset:48
	s_waitcnt vmcnt(0)
	buffer_store_dword v85, off, s[20:23], 0 offset:1004 ; 4-byte Folded Spill
	buffer_store_dword v86, off, s[20:23], 0 offset:1008 ; 4-byte Folded Spill
	;; [unrolled: 1-line block ×4, first 2 shown]
	s_clause 0x2
	global_load_dwordx4 v[72:75], v24, s[10:11] offset:32
	global_load_dwordx4 v[89:92], v24, s[10:11] offset:16
	global_load_dwordx4 v[98:101], v24, s[10:11]
	s_waitcnt vmcnt(0)
	buffer_store_dword v98, off, s[20:23], 0 offset:968 ; 4-byte Folded Spill
	buffer_store_dword v99, off, s[20:23], 0 offset:972 ; 4-byte Folded Spill
	;; [unrolled: 1-line block ×12, first 2 shown]
	s_waitcnt lgkmcnt(13)
	v_mul_f64 v[24:25], v[68:69], v[100:101]
	v_fma_f64 v[114:115], v[66:67], v[98:99], -v[24:25]
	v_mul_f64 v[24:25], v[66:67], v[100:101]
	v_fma_f64 v[66:67], v[68:69], v[98:99], v[24:25]
	s_waitcnt lgkmcnt(12)
	v_mul_f64 v[24:25], v[64:65], v[91:92]
	v_fma_f64 v[116:117], v[62:63], v[89:90], -v[24:25]
	v_mul_f64 v[24:25], v[62:63], v[91:92]
	v_fma_f64 v[68:69], v[64:65], v[89:90], v[24:25]
	;; [unrolled: 5-line block ×3, first 2 shown]
	s_waitcnt lgkmcnt(10)
	v_mul_f64 v[24:25], v[56:57], v[87:88]
	v_add_f64 v[60:61], v[76:77], -v[80:81]
	v_fma_f64 v[58:59], v[54:55], v[85:86], -v[24:25]
	v_mul_f64 v[24:25], v[54:55], v[87:88]
	v_add_f64 v[54:55], v[132:133], -v[134:135]
	v_add_f64 v[64:65], v[58:59], -v[62:63]
	v_fma_f64 v[72:73], v[56:57], v[85:86], v[24:25]
	v_mul_u32_u24_sdwa v24, v166, v84 dst_sel:DWORD dst_unused:UNUSED_PAD src0_sel:WORD_0 src1_sel:DWORD
	v_add_f64 v[56:57], v[80:81], -v[76:77]
	v_lshrrev_b32_e32 v170, 18, v24
	v_mul_lo_u16 v24, v170, 5
	v_sub_nc_u16 v171, v166, v24
	v_lshlrev_b16 v24, 2, v171
	v_lshlrev_b32_sdwa v24, v172, v24 dst_sel:DWORD dst_unused:UNUSED_PAD src0_sel:DWORD src1_sel:WORD_0
	s_clause 0x3
	global_load_dwordx4 v[248:251], v24, s[10:11] offset:48
	global_load_dwordx4 v[240:243], v24, s[10:11] offset:32
	;; [unrolled: 1-line block ×3, first 2 shown]
	global_load_dwordx4 v[208:211], v24, s[10:11]
	s_waitcnt vmcnt(0) lgkmcnt(8)
	v_mul_f64 v[24:25], v[52:53], v[210:211]
	v_fma_f64 v[74:75], v[50:51], v[208:209], -v[24:25]
	v_mul_f64 v[24:25], v[50:51], v[210:211]
	v_add_f64 v[50:51], v[134:135], -v[140:141]
	v_fma_f64 v[100:101], v[52:53], v[208:209], v[24:25]
	s_waitcnt lgkmcnt(7)
	v_mul_f64 v[24:25], v[48:49], v[230:231]
	v_add_f64 v[52:53], v[126:127], -v[140:141]
	v_fma_f64 v[78:79], v[46:47], v[228:229], -v[24:25]
	v_mul_f64 v[24:25], v[46:47], v[230:231]
	v_add_f64 v[46:47], v[112:113], -v[76:77]
	v_fma_f64 v[102:103], v[48:49], v[228:229], v[24:25]
	s_waitcnt lgkmcnt(6)
	v_mul_f64 v[24:25], v[44:45], v[242:243]
	v_add_f64 v[48:49], v[140:141], -v[134:135]
	;; [unrolled: 7-line block ×3, first 2 shown]
	v_fma_f64 v[108:109], v[38:39], v[248:249], -v[24:25]
	v_mul_f64 v[24:25], v[38:39], v[250:251]
	v_add_f64 v[38:39], v[122:123], -v[124:125]
	v_add_f64 v[48:49], v[44:45], v[48:49]
	v_fma_f64 v[104:105], v[40:41], v[248:249], v[24:25]
	v_mul_u32_u24_sdwa v24, v167, v84 dst_sel:DWORD dst_unused:UNUSED_PAD src0_sel:WORD_0 src1_sel:DWORD
	v_add_f64 v[40:41], v[120:121], -v[128:129]
	v_lshrrev_b32_e32 v173, 18, v24
	v_mul_lo_u16 v24, v173, 5
	v_sub_nc_u16 v174, v167, v24
	v_lshlrev_b16 v24, 2, v174
	v_add_f64 v[38:39], v[38:39], v[40:41]
	v_add_f64 v[40:41], v[124:125], -v[122:123]
	v_lshlrev_b32_sdwa v24, v172, v24 dst_sel:DWORD dst_unused:UNUSED_PAD src0_sel:DWORD src1_sel:WORD_0
	s_clause 0x3
	global_load_dwordx4 v[196:199], v24, s[10:11] offset:48
	global_load_dwordx4 v[152:155], v24, s[10:11] offset:32
	;; [unrolled: 1-line block ×3, first 2 shown]
	global_load_dwordx4 v[136:139], v24, s[10:11]
	s_waitcnt vmcnt(0) lgkmcnt(0)
	s_waitcnt_vscnt null, 0x0
	s_barrier
	buffer_gl0_inv
	v_add_f64 v[40:41], v[40:41], v[42:43]
	v_add_f64 v[42:43], v[110:111], -v[80:81]
	v_mul_f64 v[24:25], v[36:37], v[138:139]
	v_fma_f64 v[92:93], v[34:35], v[136:137], -v[24:25]
	v_mul_f64 v[24:25], v[34:35], v[138:139]
	v_add_f64 v[34:35], v[150:151], -v[156:157]
	v_fma_f64 v[84:85], v[36:37], v[136:137], v[24:25]
	v_mul_f64 v[24:25], v[32:33], v[146:147]
	v_fma_f64 v[94:95], v[30:31], v[144:145], -v[24:25]
	v_mul_f64 v[24:25], v[30:31], v[146:147]
	v_add_f64 v[30:31], v[124:125], -v[128:129]
	v_fma_f64 v[86:87], v[32:33], v[144:145], v[24:25]
	v_mul_f64 v[24:25], v[22:23], v[154:155]
	v_add_f64 v[32:33], v[156:157], -v[150:151]
	v_fma_f64 v[130:131], v[20:21], v[152:153], -v[24:25]
	v_mul_f64 v[20:21], v[20:21], v[154:155]
	v_add_f64 v[24:25], v[142:143], -v[148:149]
	v_fma_f64 v[88:89], v[22:23], v[152:153], v[20:21]
	v_mul_f64 v[20:21], v[18:19], v[198:199]
	v_add_f64 v[22:23], v[122:123], -v[120:121]
	v_add_f64 v[32:33], v[24:25], v[32:33]
	v_fma_f64 v[98:99], v[16:17], v[196:197], -v[20:21]
	v_mul_f64 v[16:17], v[16:17], v[198:199]
	v_fma_f64 v[90:91], v[18:19], v[196:197], v[16:17]
	v_add_f64 v[18:19], v[148:149], v[150:151]
	v_add_f64 v[16:17], v[26:27], v[142:143]
	v_fma_f64 v[18:19], v[18:19], -0.5, v[26:27]
	v_add_f64 v[16:17], v[16:17], v[148:149]
	v_fma_f64 v[20:21], v[22:23], s[6:7], v[18:19]
	v_fma_f64 v[18:19], v[22:23], s[14:15], v[18:19]
	v_add_f64 v[16:17], v[16:17], v[150:151]
	v_fma_f64 v[20:21], v[30:31], s[8:9], v[20:21]
	v_fma_f64 v[18:19], v[30:31], s[4:5], v[18:19]
	v_add_f64 v[16:17], v[16:17], v[156:157]
	v_fma_f64 v[24:25], v[32:33], s[2:3], v[20:21]
	v_fma_f64 v[20:21], v[32:33], s[2:3], v[18:19]
	v_add_f64 v[18:19], v[142:143], v[156:157]
	v_add_f64 v[32:33], v[148:149], -v[142:143]
	v_fma_f64 v[18:19], v[18:19], -0.5, v[26:27]
	v_add_f64 v[32:33], v[32:33], v[34:35]
	v_add_f64 v[34:35], v[148:149], -v[150:151]
	v_fma_f64 v[26:27], v[30:31], s[14:15], v[18:19]
	v_fma_f64 v[18:19], v[30:31], s[6:7], v[18:19]
	v_add_f64 v[30:31], v[142:143], -v[156:157]
	v_fma_f64 v[26:27], v[22:23], s[8:9], v[26:27]
	v_fma_f64 v[18:19], v[22:23], s[4:5], v[18:19]
	v_add_f64 v[22:23], v[124:125], v[128:129]
	v_fma_f64 v[36:37], v[32:33], s[2:3], v[26:27]
	v_fma_f64 v[32:33], v[32:33], s[2:3], v[18:19]
	v_fma_f64 v[22:23], v[22:23], -0.5, v[28:29]
	v_add_f64 v[18:19], v[28:29], v[122:123]
	v_fma_f64 v[26:27], v[30:31], s[14:15], v[22:23]
	v_fma_f64 v[22:23], v[30:31], s[6:7], v[22:23]
	v_add_f64 v[18:19], v[18:19], v[124:125]
	v_fma_f64 v[26:27], v[34:35], s[4:5], v[26:27]
	v_fma_f64 v[22:23], v[34:35], s[8:9], v[22:23]
	;; [unrolled: 3-line block ×3, first 2 shown]
	v_add_f64 v[38:39], v[122:123], v[120:121]
	v_add_f64 v[18:19], v[18:19], v[120:121]
	v_fma_f64 v[28:29], v[38:39], -0.5, v[28:29]
	v_fma_f64 v[38:39], v[34:35], s[6:7], v[28:29]
	v_fma_f64 v[28:29], v[34:35], s[14:15], v[28:29]
	v_fma_f64 v[38:39], v[30:31], s[4:5], v[38:39]
	v_fma_f64 v[28:29], v[30:31], s[8:9], v[28:29]
	v_add_f64 v[30:31], v[132:133], v[134:135]
	v_fma_f64 v[38:39], v[40:41], s[2:3], v[38:39]
	v_fma_f64 v[34:35], v[40:41], s[2:3], v[28:29]
	v_fma_f64 v[30:31], v[30:31], -0.5, v[12:13]
	v_add_f64 v[28:29], v[12:13], v[126:127]
	v_fma_f64 v[40:41], v[42:43], s[6:7], v[30:31]
	v_fma_f64 v[30:31], v[42:43], s[14:15], v[30:31]
	v_add_f64 v[28:29], v[28:29], v[132:133]
	v_fma_f64 v[40:41], v[46:47], s[8:9], v[40:41]
	v_fma_f64 v[30:31], v[46:47], s[4:5], v[30:31]
	;; [unrolled: 3-line block ×3, first 2 shown]
	v_add_f64 v[30:31], v[126:127], v[140:141]
	v_add_f64 v[48:49], v[132:133], -v[126:127]
	v_add_f64 v[28:29], v[28:29], v[140:141]
	v_fma_f64 v[12:13], v[30:31], -0.5, v[12:13]
	v_add_f64 v[50:51], v[48:49], v[50:51]
	v_fma_f64 v[30:31], v[46:47], s[14:15], v[12:13]
	v_fma_f64 v[12:13], v[46:47], s[6:7], v[12:13]
	;; [unrolled: 1-line block ×4, first 2 shown]
	v_add_f64 v[42:43], v[112:113], v[76:77]
	v_fma_f64 v[48:49], v[50:51], s[2:3], v[30:31]
	v_fma_f64 v[12:13], v[50:51], s[2:3], v[12:13]
	v_fma_f64 v[42:43], v[42:43], -0.5, v[14:15]
	v_add_f64 v[50:51], v[110:111], -v[112:113]
	v_add_f64 v[30:31], v[14:15], v[110:111]
	v_fma_f64 v[46:47], v[52:53], s[14:15], v[42:43]
	v_fma_f64 v[42:43], v[52:53], s[6:7], v[42:43]
	v_add_f64 v[50:51], v[50:51], v[56:57]
	v_add_f64 v[30:31], v[30:31], v[112:113]
	v_add_f64 v[56:57], v[112:113], -v[110:111]
	v_add_f64 v[112:113], v[72:73], -v[70:71]
	v_fma_f64 v[46:47], v[54:55], s[4:5], v[46:47]
	v_fma_f64 v[42:43], v[54:55], s[8:9], v[42:43]
	v_add_f64 v[30:31], v[30:31], v[76:77]
	v_add_f64 v[56:57], v[56:57], v[60:61]
	v_add_f64 v[76:77], v[66:67], -v[72:73]
	v_add_f64 v[60:61], v[114:115], -v[116:117]
	v_fma_f64 v[46:47], v[50:51], s[2:3], v[46:47]
	v_fma_f64 v[42:43], v[50:51], s[2:3], v[42:43]
	v_add_f64 v[50:51], v[110:111], v[80:81]
	v_add_f64 v[30:31], v[30:31], v[80:81]
	v_add_f64 v[80:81], v[68:69], -v[70:71]
	v_add_f64 v[110:111], v[62:63], -v[58:59]
	v_add_f64 v[64:65], v[60:61], v[64:65]
	v_fma_f64 v[14:15], v[50:51], -0.5, v[14:15]
	v_fma_f64 v[50:51], v[54:55], s[6:7], v[14:15]
	v_fma_f64 v[14:15], v[54:55], s[14:15], v[14:15]
	v_add_f64 v[54:55], v[116:117], v[62:63]
	v_fma_f64 v[50:51], v[52:53], s[4:5], v[50:51]
	v_fma_f64 v[14:15], v[52:53], s[8:9], v[14:15]
	v_fma_f64 v[54:55], v[54:55], -0.5, v[8:9]
	v_add_f64 v[52:53], v[8:9], v[114:115]
	v_fma_f64 v[50:51], v[56:57], s[2:3], v[50:51]
	v_fma_f64 v[14:15], v[56:57], s[2:3], v[14:15]
	;; [unrolled: 1-line block ×4, first 2 shown]
	v_add_f64 v[52:53], v[52:53], v[116:117]
	v_fma_f64 v[56:57], v[80:81], s[8:9], v[56:57]
	v_fma_f64 v[54:55], v[80:81], s[4:5], v[54:55]
	v_add_f64 v[52:53], v[52:53], v[62:63]
	v_fma_f64 v[60:61], v[64:65], s[2:3], v[56:57]
	v_fma_f64 v[56:57], v[64:65], s[2:3], v[54:55]
	v_add_f64 v[54:55], v[114:115], v[58:59]
	v_add_f64 v[64:65], v[116:117], -v[114:115]
	v_add_f64 v[52:53], v[52:53], v[58:59]
	v_fma_f64 v[8:9], v[54:55], -0.5, v[8:9]
	v_add_f64 v[110:111], v[64:65], v[110:111]
	v_fma_f64 v[54:55], v[80:81], s[14:15], v[8:9]
	v_fma_f64 v[8:9], v[80:81], s[6:7], v[8:9]
	v_add_f64 v[80:81], v[114:115], -v[58:59]
	v_add_f64 v[114:115], v[106:107], -v[108:109]
	v_fma_f64 v[54:55], v[76:77], s[8:9], v[54:55]
	v_fma_f64 v[8:9], v[76:77], s[4:5], v[8:9]
	v_add_f64 v[76:77], v[68:69], v[70:71]
	v_fma_f64 v[64:65], v[110:111], s[2:3], v[54:55]
	v_fma_f64 v[8:9], v[110:111], s[2:3], v[8:9]
	v_fma_f64 v[76:77], v[76:77], -0.5, v[10:11]
	v_add_f64 v[110:111], v[116:117], -v[62:63]
	v_add_f64 v[62:63], v[66:67], -v[68:69]
	v_add_f64 v[54:55], v[10:11], v[66:67]
	v_fma_f64 v[58:59], v[80:81], s[14:15], v[76:77]
	v_add_f64 v[112:113], v[62:63], v[112:113]
	v_add_f64 v[54:55], v[54:55], v[68:69]
	v_fma_f64 v[58:59], v[110:111], s[4:5], v[58:59]
	v_add_f64 v[54:55], v[54:55], v[70:71]
	v_fma_f64 v[62:63], v[112:113], s[2:3], v[58:59]
	v_fma_f64 v[58:59], v[80:81], s[6:7], v[76:77]
	v_add_f64 v[76:77], v[66:67], v[72:73]
	v_add_f64 v[66:67], v[68:69], -v[66:67]
	v_add_f64 v[68:69], v[70:71], -v[72:73]
	v_add_f64 v[70:71], v[78:79], v[106:107]
	v_add_f64 v[54:55], v[54:55], v[72:73]
	v_fma_f64 v[58:59], v[110:111], s[8:9], v[58:59]
	v_fma_f64 v[10:11], v[76:77], -0.5, v[10:11]
	v_add_f64 v[68:69], v[66:67], v[68:69]
	v_fma_f64 v[70:71], v[70:71], -0.5, v[4:5]
	v_fma_f64 v[58:59], v[112:113], s[2:3], v[58:59]
	v_fma_f64 v[76:77], v[110:111], s[6:7], v[10:11]
	;; [unrolled: 1-line block ×3, first 2 shown]
	v_add_f64 v[110:111], v[102:103], -v[82:83]
	v_add_f64 v[112:113], v[108:109], -v[106:107]
	v_fma_f64 v[76:77], v[80:81], s[4:5], v[76:77]
	v_fma_f64 v[10:11], v[80:81], s[8:9], v[10:11]
	v_add_f64 v[80:81], v[100:101], -v[104:105]
	v_fma_f64 v[66:67], v[68:69], s[2:3], v[76:77]
	v_add_f64 v[76:77], v[74:75], -v[78:79]
	v_fma_f64 v[72:73], v[80:81], s[6:7], v[70:71]
	v_fma_f64 v[70:71], v[80:81], s[14:15], v[70:71]
	;; [unrolled: 1-line block ×3, first 2 shown]
	v_add_f64 v[68:69], v[4:5], v[74:75]
	v_add_f64 v[112:113], v[76:77], v[112:113]
	v_fma_f64 v[72:73], v[110:111], s[8:9], v[72:73]
	v_fma_f64 v[70:71], v[110:111], s[4:5], v[70:71]
	v_add_f64 v[68:69], v[68:69], v[78:79]
	v_fma_f64 v[76:77], v[112:113], s[2:3], v[72:73]
	v_fma_f64 v[72:73], v[112:113], s[2:3], v[70:71]
	v_add_f64 v[70:71], v[74:75], v[108:109]
	v_add_f64 v[68:69], v[68:69], v[106:107]
	v_add_f64 v[112:113], v[78:79], -v[74:75]
	v_add_f64 v[106:107], v[78:79], -v[106:107]
	;; [unrolled: 1-line block ×3, first 2 shown]
	v_fma_f64 v[70:71], v[70:71], -0.5, v[4:5]
	v_add_f64 v[68:69], v[68:69], v[108:109]
	v_add_f64 v[112:113], v[112:113], v[114:115]
	v_add_f64 v[108:109], v[74:75], -v[108:109]
	v_add_f64 v[114:115], v[130:131], -v[98:99]
	v_fma_f64 v[4:5], v[110:111], s[14:15], v[70:71]
	v_fma_f64 v[70:71], v[110:111], s[6:7], v[70:71]
	v_add_f64 v[110:111], v[102:103], v[82:83]
	v_fma_f64 v[4:5], v[80:81], s[8:9], v[4:5]
	v_fma_f64 v[70:71], v[80:81], s[4:5], v[70:71]
	v_fma_f64 v[110:111], v[110:111], -0.5, v[6:7]
	v_fma_f64 v[4:5], v[112:113], s[2:3], v[4:5]
	v_fma_f64 v[80:81], v[112:113], s[2:3], v[70:71]
	v_fma_f64 v[74:75], v[108:109], s[14:15], v[110:111]
	v_add_f64 v[112:113], v[104:105], -v[82:83]
	v_add_f64 v[70:71], v[6:7], v[100:101]
	v_fma_f64 v[74:75], v[106:107], s[4:5], v[74:75]
	v_add_f64 v[112:113], v[78:79], v[112:113]
	v_add_f64 v[70:71], v[70:71], v[102:103]
	v_fma_f64 v[78:79], v[112:113], s[2:3], v[74:75]
	v_fma_f64 v[74:75], v[108:109], s[6:7], v[110:111]
	v_add_f64 v[110:111], v[100:101], v[104:105]
	v_add_f64 v[70:71], v[70:71], v[82:83]
	v_add_f64 v[100:101], v[102:103], -v[100:101]
	v_add_f64 v[82:83], v[82:83], -v[104:105]
	v_add_f64 v[102:103], v[94:95], v[130:131]
	v_fma_f64 v[74:75], v[106:107], s[8:9], v[74:75]
	v_fma_f64 v[110:111], v[110:111], -0.5, v[6:7]
	v_add_f64 v[70:71], v[70:71], v[104:105]
	v_add_f64 v[82:83], v[100:101], v[82:83]
	v_fma_f64 v[102:103], v[102:103], -0.5, v[0:1]
	v_fma_f64 v[74:75], v[112:113], s[2:3], v[74:75]
	v_fma_f64 v[6:7], v[106:107], s[6:7], v[110:111]
	;; [unrolled: 1-line block ×3, first 2 shown]
	v_add_f64 v[106:107], v[84:85], -v[90:91]
	v_add_f64 v[110:111], v[86:87], -v[88:89]
	;; [unrolled: 1-line block ×3, first 2 shown]
	v_fma_f64 v[6:7], v[108:109], s[4:5], v[6:7]
	v_fma_f64 v[100:101], v[108:109], s[8:9], v[100:101]
	;; [unrolled: 1-line block ×3, first 2 shown]
	v_add_f64 v[108:109], v[92:93], -v[94:95]
	v_fma_f64 v[102:103], v[106:107], s[14:15], v[102:103]
	v_fma_f64 v[6:7], v[82:83], s[2:3], v[6:7]
	;; [unrolled: 1-line block ×4, first 2 shown]
	v_add_f64 v[108:109], v[108:109], v[112:113]
	v_fma_f64 v[102:103], v[110:111], s[4:5], v[102:103]
	v_add_f64 v[100:101], v[0:1], v[92:93]
	v_add_f64 v[112:113], v[94:95], -v[92:93]
	v_fma_f64 v[104:105], v[108:109], s[2:3], v[104:105]
	v_fma_f64 v[108:109], v[108:109], s[2:3], v[102:103]
	v_add_f64 v[102:103], v[92:93], v[98:99]
	v_add_f64 v[100:101], v[100:101], v[94:95]
	v_add_f64 v[92:93], v[92:93], -v[98:99]
	v_add_f64 v[112:113], v[112:113], v[114:115]
	v_add_f64 v[94:95], v[94:95], -v[130:131]
	v_add_f64 v[114:115], v[90:91], -v[88:89]
	v_fma_f64 v[102:103], v[102:103], -0.5, v[0:1]
	v_add_f64 v[100:101], v[100:101], v[130:131]
	v_fma_f64 v[0:1], v[110:111], s[14:15], v[102:103]
	v_fma_f64 v[102:103], v[110:111], s[6:7], v[102:103]
	v_add_f64 v[100:101], v[100:101], v[98:99]
	v_fma_f64 v[0:1], v[106:107], s[8:9], v[0:1]
	v_fma_f64 v[102:103], v[106:107], s[4:5], v[102:103]
	;; [unrolled: 3-line block ×3, first 2 shown]
	v_fma_f64 v[110:111], v[106:107], -0.5, v[2:3]
	v_add_f64 v[106:107], v[84:85], -v[86:87]
	v_add_f64 v[102:103], v[2:3], v[84:85]
	v_fma_f64 v[98:99], v[92:93], s[14:15], v[110:111]
	v_add_f64 v[114:115], v[106:107], v[114:115]
	v_add_f64 v[102:103], v[102:103], v[86:87]
	v_fma_f64 v[98:99], v[94:95], s[4:5], v[98:99]
	v_add_f64 v[102:103], v[102:103], v[88:89]
	v_fma_f64 v[106:107], v[114:115], s[2:3], v[98:99]
	v_fma_f64 v[98:99], v[92:93], s[6:7], v[110:111]
	v_add_f64 v[102:103], v[102:103], v[90:91]
	v_fma_f64 v[98:99], v[94:95], s[8:9], v[98:99]
	v_fma_f64 v[110:111], v[114:115], s[2:3], v[98:99]
	v_add_f64 v[98:99], v[84:85], v[90:91]
	v_add_f64 v[84:85], v[86:87], -v[84:85]
	v_add_f64 v[86:87], v[88:89], -v[90:91]
	v_fma_f64 v[98:99], v[98:99], -0.5, v[2:3]
	v_add_f64 v[84:85], v[84:85], v[86:87]
	v_fma_f64 v[2:3], v[94:95], s[6:7], v[98:99]
	v_fma_f64 v[86:87], v[94:95], s[14:15], v[98:99]
	;; [unrolled: 1-line block ×6, first 2 shown]
	v_mov_b32_e32 v84, 25
	v_mul_u32_u24_sdwa v85, v160, v84 dst_sel:DWORD dst_unused:UNUSED_PAD src0_sel:WORD_0 src1_sel:DWORD
	v_add_lshl_u32 v85, v85, v161, 4
	buffer_store_dword v85, off, s[20:23], 0 offset:1212 ; 4-byte Folded Spill
	ds_write_b128 v85, v[16:19]
	ds_write_b128 v85, v[24:27] offset:80
	ds_write_b128 v85, v[36:39] offset:160
	;; [unrolled: 1-line block ×4, first 2 shown]
	v_mul_u32_u24_sdwa v16, v162, v84 dst_sel:DWORD dst_unused:UNUSED_PAD src0_sel:WORD_0 src1_sel:DWORD
	v_mul_lo_u16 v24, v159, 41
	v_add_lshl_u32 v16, v16, v163, 4
	v_lshrrev_b16 v142, 10, v24
	buffer_store_dword v16, off, s[20:23], 0 offset:1204 ; 4-byte Folded Spill
	ds_write_b128 v16, v[28:31]
	ds_write_b128 v16, v[44:47] offset:80
	ds_write_b128 v16, v[48:51] offset:160
	;; [unrolled: 1-line block ×4, first 2 shown]
	v_mad_u16 v12, v168, 25, v169
	v_mul_lo_u16 v24, v142, 25
	v_lshlrev_b32_sdwa v12, v172, v12 dst_sel:DWORD dst_unused:UNUSED_PAD src0_sel:DWORD src1_sel:WORD_0
	v_sub_nc_u16 v24, v158, v24
	buffer_store_dword v12, off, s[20:23], 0 offset:1196 ; 4-byte Folded Spill
	ds_write_b128 v12, v[52:55]
	ds_write_b128 v12, v[60:63] offset:80
	ds_write_b128 v12, v[64:67] offset:160
	;; [unrolled: 1-line block ×4, first 2 shown]
	v_mad_u16 v8, v170, 25, v171
	v_and_b32_e32 v143, 0xff, v24
	v_lshlrev_b32_sdwa v8, v172, v8 dst_sel:DWORD dst_unused:UNUSED_PAD src0_sel:DWORD src1_sel:WORD_0
	v_lshlrev_b32_e32 v24, 6, v143
	buffer_store_dword v8, off, s[20:23], 0 offset:732 ; 4-byte Folded Spill
	ds_write_b128 v8, v[68:71]
	ds_write_b128 v8, v[76:79] offset:80
	ds_write_b128 v8, v[4:7] offset:160
	;; [unrolled: 1-line block ×4, first 2 shown]
	v_mad_u16 v4, v173, 25, v174
	v_lshlrev_b32_sdwa v4, v172, v4 dst_sel:DWORD dst_unused:UNUSED_PAD src0_sel:DWORD src1_sel:WORD_0
	buffer_store_dword v4, off, s[20:23], 0 offset:484 ; 4-byte Folded Spill
	ds_write_b128 v4, v[100:103]
	ds_write_b128 v4, v[104:107] offset:80
	ds_write_b128 v4, v[0:3] offset:160
	;; [unrolled: 1-line block ×4, first 2 shown]
	s_waitcnt lgkmcnt(0)
	s_waitcnt_vscnt null, 0x0
	s_barrier
	buffer_gl0_inv
	ds_read_b128 v[26:29], v118
	ds_read_b128 v[98:101], v118 offset:10000
	ds_read_b128 v[102:105], v118 offset:20000
	;; [unrolled: 1-line block ×24, first 2 shown]
	global_load_dwordx4 v[106:109], v24, s[10:11] offset:368
	s_waitcnt vmcnt(0)
	buffer_store_dword v106, off, s[20:23], 0 offset:736 ; 4-byte Folded Spill
	buffer_store_dword v107, off, s[20:23], 0 offset:740 ; 4-byte Folded Spill
	buffer_store_dword v108, off, s[20:23], 0 offset:744 ; 4-byte Folded Spill
	buffer_store_dword v109, off, s[20:23], 0 offset:748 ; 4-byte Folded Spill
	s_clause 0x2
	global_load_dwordx4 v[110:113], v24, s[10:11] offset:352
	global_load_dwordx4 v[114:117], v24, s[10:11] offset:336
	global_load_dwordx4 v[120:123], v24, s[10:11] offset:320
	s_waitcnt vmcnt(0)
	buffer_store_dword v120, off, s[20:23], 0 offset:680 ; 4-byte Folded Spill
	buffer_store_dword v121, off, s[20:23], 0 offset:684 ; 4-byte Folded Spill
	;; [unrolled: 1-line block ×8, first 2 shown]
	s_waitcnt lgkmcnt(23)
	v_mul_f64 v[24:25], v[100:101], v[122:123]
	v_fma_f64 v[159:160], v[98:99], v[120:121], -v[24:25]
	v_mul_f64 v[24:25], v[98:99], v[122:123]
	v_fma_f64 v[124:125], v[100:101], v[120:121], v[24:25]
	s_waitcnt lgkmcnt(22)
	v_mul_f64 v[24:25], v[104:105], v[116:117]
	v_fma_f64 v[161:162], v[102:103], v[114:115], -v[24:25]
	v_mul_f64 v[24:25], v[102:103], v[116:117]
	v_fma_f64 v[128:129], v[104:105], v[114:115], v[24:25]
	s_waitcnt lgkmcnt(21)
	v_mul_f64 v[24:25], v[92:93], v[112:113]
	v_fma_f64 v[173:174], v[90:91], v[110:111], -v[24:25]
	v_mul_f64 v[24:25], v[90:91], v[112:113]
	buffer_store_dword v110, off, s[20:23], 0 offset:752 ; 4-byte Folded Spill
	buffer_store_dword v111, off, s[20:23], 0 offset:756 ; 4-byte Folded Spill
	;; [unrolled: 1-line block ×4, first 2 shown]
	v_fma_f64 v[130:131], v[92:93], v[110:111], v[24:25]
	s_waitcnt lgkmcnt(20)
	v_mul_f64 v[24:25], v[88:89], v[108:109]
	v_fma_f64 v[175:176], v[86:87], v[106:107], -v[24:25]
	v_mul_f64 v[24:25], v[86:87], v[108:109]
	v_fma_f64 v[132:133], v[88:89], v[106:107], v[24:25]
	v_mul_lo_u16 v24, v119, 41
	v_lshrrev_b16 v119, 10, v24
	v_mul_lo_u16 v24, v119, 25
	v_sub_nc_u16 v24, v164, v24
	v_and_b32_e32 v148, 0xff, v24
	v_lshlrev_b32_e32 v24, 6, v148
	global_load_dwordx4 v[86:89], v24, s[10:11] offset:368
	s_waitcnt vmcnt(0)
	buffer_store_dword v86, off, s[20:23], 0 offset:888 ; 4-byte Folded Spill
	buffer_store_dword v87, off, s[20:23], 0 offset:892 ; 4-byte Folded Spill
	;; [unrolled: 1-line block ×4, first 2 shown]
	s_clause 0x2
	global_load_dwordx4 v[90:93], v24, s[10:11] offset:352
	global_load_dwordx4 v[98:101], v24, s[10:11] offset:336
	;; [unrolled: 1-line block ×3, first 2 shown]
	s_waitcnt vmcnt(0)
	buffer_store_dword v102, off, s[20:23], 0 offset:840 ; 4-byte Folded Spill
	buffer_store_dword v103, off, s[20:23], 0 offset:844 ; 4-byte Folded Spill
	;; [unrolled: 1-line block ×12, first 2 shown]
	s_waitcnt lgkmcnt(18)
	v_mul_f64 v[24:25], v[84:85], v[104:105]
	v_fma_f64 v[134:135], v[82:83], v[102:103], -v[24:25]
	v_mul_f64 v[24:25], v[82:83], v[104:105]
	v_fma_f64 v[110:111], v[84:85], v[102:103], v[24:25]
	s_waitcnt lgkmcnt(17)
	v_mul_f64 v[24:25], v[80:81], v[100:101]
	v_mov_b32_e32 v84, 0x47af
	v_fma_f64 v[120:121], v[78:79], v[98:99], -v[24:25]
	v_mul_f64 v[24:25], v[78:79], v[100:101]
	v_fma_f64 v[114:115], v[80:81], v[98:99], v[24:25]
	s_waitcnt lgkmcnt(16)
	v_mul_f64 v[24:25], v[76:77], v[92:93]
	v_fma_f64 v[122:123], v[74:75], v[90:91], -v[24:25]
	v_mul_f64 v[24:25], v[74:75], v[92:93]
	v_fma_f64 v[112:113], v[76:77], v[90:91], v[24:25]
	s_waitcnt lgkmcnt(15)
	v_mul_f64 v[24:25], v[72:73], v[88:89]
	v_fma_f64 v[126:127], v[70:71], v[86:87], -v[24:25]
	v_mul_f64 v[24:25], v[70:71], v[88:89]
	v_fma_f64 v[116:117], v[72:73], v[86:87], v[24:25]
	v_mul_u32_u24_sdwa v24, v165, v84 dst_sel:DWORD dst_unused:UNUSED_PAD src0_sel:WORD_0 src1_sel:DWORD
	v_lshrrev_b32_e32 v24, 16, v24
	v_sub_nc_u16 v25, v165, v24
	v_lshrrev_b16 v25, 1, v25
	v_add_nc_u16 v24, v25, v24
	v_lshrrev_b16 v149, 4, v24
	v_mul_lo_u16 v24, v149, 25
	v_sub_nc_u16 v150, v165, v24
	v_lshlrev_b16 v24, 6, v150
	v_and_b32_e32 v24, 0xffff, v24
	v_add_co_u32 v24, s16, s10, v24
	v_add_co_ci_u32_e64 v25, null, s11, 0, s16
	global_load_dwordx4 v[85:88], v[24:25], off offset:368
	s_waitcnt vmcnt(0)
	buffer_store_dword v85, off, s[20:23], 0 offset:1132 ; 4-byte Folded Spill
	buffer_store_dword v86, off, s[20:23], 0 offset:1136 ; 4-byte Folded Spill
	;; [unrolled: 1-line block ×4, first 2 shown]
	s_clause 0x2
	global_load_dwordx4 v[72:75], v[24:25], off offset:352
	global_load_dwordx4 v[89:92], v[24:25], off offset:336
	;; [unrolled: 1-line block ×3, first 2 shown]
	s_waitcnt vmcnt(0)
	buffer_store_dword v78, off, s[20:23], 0 offset:1052 ; 4-byte Folded Spill
	buffer_store_dword v79, off, s[20:23], 0 offset:1056 ; 4-byte Folded Spill
	;; [unrolled: 1-line block ×12, first 2 shown]
	s_waitcnt lgkmcnt(13)
	v_mul_f64 v[24:25], v[68:69], v[80:81]
	v_fma_f64 v[76:77], v[66:67], v[78:79], -v[24:25]
	v_mul_f64 v[24:25], v[66:67], v[80:81]
	v_fma_f64 v[66:67], v[68:69], v[78:79], v[24:25]
	s_waitcnt lgkmcnt(12)
	v_mul_f64 v[24:25], v[64:65], v[91:92]
	v_fma_f64 v[80:81], v[62:63], v[89:90], -v[24:25]
	v_mul_f64 v[24:25], v[62:63], v[91:92]
	v_fma_f64 v[70:71], v[64:65], v[89:90], v[24:25]
	;; [unrolled: 5-line block ×3, first 2 shown]
	s_waitcnt lgkmcnt(10)
	v_mul_f64 v[24:25], v[56:57], v[87:88]
	v_add_f64 v[60:61], v[112:113], -v[116:117]
	v_fma_f64 v[58:59], v[54:55], v[85:86], -v[24:25]
	v_mul_f64 v[24:25], v[54:55], v[87:88]
	v_add_f64 v[54:55], v[120:121], -v[122:123]
	v_add_f64 v[64:65], v[58:59], -v[62:63]
	v_fma_f64 v[72:73], v[56:57], v[85:86], v[24:25]
	v_mul_u32_u24_sdwa v24, v166, v84 dst_sel:DWORD dst_unused:UNUSED_PAD src0_sel:WORD_0 src1_sel:DWORD
	v_add_f64 v[56:57], v[116:117], -v[112:113]
	v_lshrrev_b32_e32 v24, 16, v24
	v_sub_nc_u16 v25, v166, v24
	v_lshrrev_b16 v25, 1, v25
	v_add_nc_u16 v24, v25, v24
	v_lshrrev_b16 v151, 4, v24
	v_mul_lo_u16 v24, v151, 25
	v_sub_nc_u16 v156, v166, v24
	v_lshlrev_b16 v24, 6, v156
	v_and_b32_e32 v24, 0xffff, v24
	v_add_co_u32 v24, s16, s10, v24
	v_add_co_ci_u32_e64 v25, null, s11, 0, s16
	s_clause 0x3
	global_load_dwordx4 v[244:247], v[24:25], off offset:368
	global_load_dwordx4 v[232:235], v[24:25], off offset:352
	;; [unrolled: 1-line block ×4, first 2 shown]
	s_waitcnt vmcnt(0) lgkmcnt(8)
	v_mul_f64 v[24:25], v[52:53], v[202:203]
	v_fma_f64 v[74:75], v[50:51], v[200:201], -v[24:25]
	v_mul_f64 v[24:25], v[50:51], v[202:203]
	v_add_f64 v[50:51], v[122:123], -v[126:127]
	v_fma_f64 v[82:83], v[52:53], v[200:201], v[24:25]
	s_waitcnt lgkmcnt(7)
	v_mul_f64 v[24:25], v[48:49], v[226:227]
	v_add_f64 v[52:53], v[134:135], -v[126:127]
	v_fma_f64 v[78:79], v[46:47], v[224:225], -v[24:25]
	v_mul_f64 v[24:25], v[46:47], v[226:227]
	v_fma_f64 v[100:101], v[48:49], v[224:225], v[24:25]
	s_waitcnt lgkmcnt(6)
	v_mul_f64 v[24:25], v[44:45], v[234:235]
	v_add_f64 v[48:49], v[126:127], -v[122:123]
	v_fma_f64 v[106:107], v[42:43], v[232:233], -v[24:25]
	v_mul_f64 v[24:25], v[42:43], v[234:235]
	v_add_f64 v[42:43], v[114:115], -v[112:113]
	v_fma_f64 v[102:103], v[44:45], v[232:233], v[24:25]
	s_waitcnt lgkmcnt(5)
	v_mul_f64 v[24:25], v[40:41], v[246:247]
	v_fma_f64 v[108:109], v[38:39], v[244:245], -v[24:25]
	v_mul_f64 v[24:25], v[38:39], v[246:247]
	v_add_f64 v[38:39], v[132:133], -v[130:131]
	v_fma_f64 v[104:105], v[40:41], v[244:245], v[24:25]
	v_mul_u32_u24_sdwa v24, v167, v84 dst_sel:DWORD dst_unused:UNUSED_PAD src0_sel:WORD_0 src1_sel:DWORD
	v_add_f64 v[40:41], v[130:131], -v[132:133]
	v_lshrrev_b32_e32 v24, 16, v24
	v_sub_nc_u16 v25, v167, v24
	v_lshrrev_b16 v25, 1, v25
	v_add_nc_u16 v24, v25, v24
	v_lshrrev_b16 v157, 4, v24
	v_mul_lo_u16 v24, v157, 25
	v_sub_nc_u16 v158, v167, v24
	v_lshlrev_b16 v24, 6, v158
	v_and_b32_e32 v24, 0xffff, v24
	v_add_co_u32 v24, s16, s10, v24
	v_add_co_ci_u32_e64 v25, null, s11, 0, s16
	s_clause 0x3
	global_load_dwordx4 v[192:195], v[24:25], off offset:368
	global_load_dwordx4 v[188:191], v[24:25], off offset:352
	;; [unrolled: 1-line block ×4, first 2 shown]
	s_waitcnt vmcnt(0) lgkmcnt(0)
	s_waitcnt_vscnt null, 0x0
	s_barrier
	buffer_gl0_inv
	v_mul_f64 v[24:25], v[36:37], v[170:171]
	v_fma_f64 v[92:93], v[34:35], v[168:169], -v[24:25]
	v_mul_f64 v[24:25], v[34:35], v[170:171]
	v_add_f64 v[34:35], v[173:174], -v[175:176]
	v_fma_f64 v[84:85], v[36:37], v[168:169], v[24:25]
	v_mul_f64 v[24:25], v[32:33], v[186:187]
	v_fma_f64 v[94:95], v[30:31], v[184:185], -v[24:25]
	v_mul_f64 v[24:25], v[30:31], v[186:187]
	v_add_f64 v[30:31], v[128:129], -v[130:131]
	v_fma_f64 v[86:87], v[32:33], v[184:185], v[24:25]
	v_mul_f64 v[24:25], v[22:23], v[190:191]
	v_add_f64 v[32:33], v[175:176], -v[173:174]
	v_fma_f64 v[140:141], v[20:21], v[188:189], -v[24:25]
	v_mul_f64 v[20:21], v[20:21], v[190:191]
	v_add_f64 v[24:25], v[159:160], -v[161:162]
	v_fma_f64 v[88:89], v[22:23], v[188:189], v[20:21]
	v_mul_f64 v[20:21], v[14:15], v[194:195]
	v_add_f64 v[22:23], v[124:125], -v[132:133]
	v_add_f64 v[32:33], v[24:25], v[32:33]
	v_fma_f64 v[98:99], v[12:13], v[192:193], -v[20:21]
	v_mul_f64 v[12:13], v[12:13], v[194:195]
	v_fma_f64 v[90:91], v[14:15], v[192:193], v[12:13]
	v_add_f64 v[14:15], v[161:162], v[173:174]
	v_add_f64 v[12:13], v[26:27], v[159:160]
	v_fma_f64 v[14:15], v[14:15], -0.5, v[26:27]
	v_add_f64 v[12:13], v[12:13], v[161:162]
	v_fma_f64 v[20:21], v[22:23], s[6:7], v[14:15]
	v_fma_f64 v[14:15], v[22:23], s[14:15], v[14:15]
	v_add_f64 v[12:13], v[12:13], v[173:174]
	v_fma_f64 v[20:21], v[30:31], s[8:9], v[20:21]
	v_fma_f64 v[14:15], v[30:31], s[4:5], v[14:15]
	;; [unrolled: 3-line block ×3, first 2 shown]
	v_add_f64 v[14:15], v[159:160], v[175:176]
	v_add_f64 v[32:33], v[161:162], -v[159:160]
	v_fma_f64 v[14:15], v[14:15], -0.5, v[26:27]
	v_add_f64 v[32:33], v[32:33], v[34:35]
	v_add_f64 v[34:35], v[124:125], -v[128:129]
	v_fma_f64 v[26:27], v[30:31], s[14:15], v[14:15]
	v_fma_f64 v[14:15], v[30:31], s[6:7], v[14:15]
	v_add_f64 v[30:31], v[159:160], -v[175:176]
	v_add_f64 v[34:35], v[34:35], v[38:39]
	v_add_f64 v[38:39], v[128:129], -v[124:125]
	v_fma_f64 v[26:27], v[22:23], s[8:9], v[26:27]
	v_fma_f64 v[14:15], v[22:23], s[4:5], v[14:15]
	v_add_f64 v[22:23], v[128:129], v[130:131]
	v_add_f64 v[38:39], v[38:39], v[40:41]
	v_add_f64 v[40:41], v[134:135], -v[120:121]
	v_fma_f64 v[44:45], v[32:33], s[2:3], v[26:27]
	v_fma_f64 v[36:37], v[32:33], s[2:3], v[14:15]
	v_fma_f64 v[22:23], v[22:23], -0.5, v[28:29]
	v_add_f64 v[32:33], v[161:162], -v[173:174]
	v_add_f64 v[14:15], v[28:29], v[124:125]
	v_add_f64 v[48:49], v[40:41], v[48:49]
	v_fma_f64 v[26:27], v[30:31], s[14:15], v[22:23]
	v_fma_f64 v[22:23], v[30:31], s[6:7], v[22:23]
	v_add_f64 v[14:15], v[14:15], v[128:129]
	v_fma_f64 v[26:27], v[32:33], s[4:5], v[26:27]
	v_fma_f64 v[22:23], v[32:33], s[8:9], v[22:23]
	;; [unrolled: 3-line block ×3, first 2 shown]
	v_add_f64 v[34:35], v[124:125], v[132:133]
	v_add_f64 v[14:15], v[14:15], v[132:133]
	v_fma_f64 v[28:29], v[34:35], -0.5, v[28:29]
	v_fma_f64 v[34:35], v[32:33], s[6:7], v[28:29]
	v_fma_f64 v[28:29], v[32:33], s[14:15], v[28:29]
	v_fma_f64 v[34:35], v[30:31], s[4:5], v[34:35]
	v_fma_f64 v[28:29], v[30:31], s[8:9], v[28:29]
	v_add_f64 v[30:31], v[120:121], v[122:123]
	v_fma_f64 v[46:47], v[38:39], s[2:3], v[34:35]
	v_add_f64 v[34:35], v[110:111], -v[116:117]
	v_fma_f64 v[30:31], v[30:31], -0.5, v[16:17]
	v_fma_f64 v[38:39], v[38:39], s[2:3], v[28:29]
	v_add_f64 v[28:29], v[16:17], v[134:135]
	v_fma_f64 v[32:33], v[34:35], s[6:7], v[30:31]
	v_fma_f64 v[30:31], v[34:35], s[14:15], v[30:31]
	v_add_f64 v[28:29], v[28:29], v[120:121]
	v_fma_f64 v[32:33], v[42:43], s[8:9], v[32:33]
	;; [unrolled: 3-line block ×3, first 2 shown]
	v_fma_f64 v[32:33], v[48:49], s[2:3], v[30:31]
	v_add_f64 v[30:31], v[134:135], v[126:127]
	v_add_f64 v[48:49], v[120:121], -v[134:135]
	v_add_f64 v[28:29], v[28:29], v[126:127]
	v_fma_f64 v[16:17], v[30:31], -0.5, v[16:17]
	v_add_f64 v[50:51], v[48:49], v[50:51]
	v_fma_f64 v[30:31], v[42:43], s[14:15], v[16:17]
	v_fma_f64 v[16:17], v[42:43], s[6:7], v[16:17]
	;; [unrolled: 1-line block ×4, first 2 shown]
	v_add_f64 v[34:35], v[114:115], v[112:113]
	v_fma_f64 v[48:49], v[50:51], s[2:3], v[30:31]
	v_fma_f64 v[16:17], v[50:51], s[2:3], v[16:17]
	v_fma_f64 v[34:35], v[34:35], -0.5, v[18:19]
	v_add_f64 v[50:51], v[110:111], -v[114:115]
	v_add_f64 v[30:31], v[18:19], v[110:111]
	v_fma_f64 v[42:43], v[52:53], s[14:15], v[34:35]
	v_fma_f64 v[34:35], v[52:53], s[6:7], v[34:35]
	v_add_f64 v[50:51], v[50:51], v[56:57]
	v_add_f64 v[56:57], v[114:115], -v[110:111]
	v_add_f64 v[30:31], v[30:31], v[114:115]
	v_add_f64 v[114:115], v[62:63], -v[58:59]
	v_fma_f64 v[42:43], v[54:55], s[4:5], v[42:43]
	v_fma_f64 v[34:35], v[54:55], s[8:9], v[34:35]
	v_add_f64 v[56:57], v[56:57], v[60:61]
	v_add_f64 v[30:31], v[30:31], v[112:113]
	v_add_f64 v[112:113], v[70:71], -v[68:69]
	v_add_f64 v[60:61], v[76:77], -v[80:81]
	v_fma_f64 v[42:43], v[50:51], s[2:3], v[42:43]
	v_fma_f64 v[34:35], v[50:51], s[2:3], v[34:35]
	v_add_f64 v[50:51], v[110:111], v[116:117]
	v_add_f64 v[110:111], v[66:67], -v[72:73]
	v_add_f64 v[30:31], v[30:31], v[116:117]
	v_add_f64 v[64:65], v[60:61], v[64:65]
	v_fma_f64 v[18:19], v[50:51], -0.5, v[18:19]
	v_fma_f64 v[50:51], v[54:55], s[6:7], v[18:19]
	v_fma_f64 v[18:19], v[54:55], s[14:15], v[18:19]
	v_add_f64 v[54:55], v[80:81], v[62:63]
	v_fma_f64 v[50:51], v[52:53], s[4:5], v[50:51]
	v_fma_f64 v[18:19], v[52:53], s[8:9], v[18:19]
	v_fma_f64 v[54:55], v[54:55], -0.5, v[8:9]
	v_add_f64 v[52:53], v[8:9], v[76:77]
	v_fma_f64 v[50:51], v[56:57], s[2:3], v[50:51]
	v_fma_f64 v[18:19], v[56:57], s[2:3], v[18:19]
	;; [unrolled: 1-line block ×4, first 2 shown]
	v_add_f64 v[52:53], v[52:53], v[80:81]
	v_fma_f64 v[56:57], v[112:113], s[8:9], v[56:57]
	v_fma_f64 v[54:55], v[112:113], s[4:5], v[54:55]
	v_add_f64 v[52:53], v[52:53], v[62:63]
	v_fma_f64 v[60:61], v[64:65], s[2:3], v[56:57]
	v_fma_f64 v[56:57], v[64:65], s[2:3], v[54:55]
	v_add_f64 v[54:55], v[76:77], v[58:59]
	v_add_f64 v[64:65], v[80:81], -v[76:77]
	v_add_f64 v[76:77], v[76:77], -v[58:59]
	v_add_f64 v[52:53], v[52:53], v[58:59]
	v_add_f64 v[80:81], v[80:81], -v[62:63]
	v_add_f64 v[62:63], v[66:67], -v[70:71]
	v_fma_f64 v[8:9], v[54:55], -0.5, v[8:9]
	v_add_f64 v[114:115], v[64:65], v[114:115]
	v_fma_f64 v[54:55], v[112:113], s[14:15], v[8:9]
	v_fma_f64 v[8:9], v[112:113], s[6:7], v[8:9]
	v_add_f64 v[112:113], v[72:73], -v[68:69]
	v_fma_f64 v[54:55], v[110:111], s[8:9], v[54:55]
	v_fma_f64 v[8:9], v[110:111], s[4:5], v[8:9]
	v_add_f64 v[110:111], v[70:71], v[68:69]
	v_add_f64 v[112:113], v[62:63], v[112:113]
	v_fma_f64 v[64:65], v[114:115], s[2:3], v[54:55]
	v_add_f64 v[54:55], v[10:11], v[66:67]
	v_fma_f64 v[110:111], v[110:111], -0.5, v[10:11]
	v_fma_f64 v[8:9], v[114:115], s[2:3], v[8:9]
	v_add_f64 v[114:115], v[106:107], -v[108:109]
	v_add_f64 v[54:55], v[54:55], v[70:71]
	v_fma_f64 v[58:59], v[76:77], s[14:15], v[110:111]
	v_add_f64 v[54:55], v[54:55], v[68:69]
	v_fma_f64 v[58:59], v[80:81], s[4:5], v[58:59]
	v_add_f64 v[68:69], v[68:69], -v[72:73]
	v_add_f64 v[54:55], v[54:55], v[72:73]
	v_fma_f64 v[62:63], v[112:113], s[2:3], v[58:59]
	v_fma_f64 v[58:59], v[76:77], s[6:7], v[110:111]
	v_add_f64 v[110:111], v[66:67], v[72:73]
	v_add_f64 v[66:67], v[70:71], -v[66:67]
	v_add_f64 v[70:71], v[78:79], v[106:107]
	v_fma_f64 v[58:59], v[80:81], s[8:9], v[58:59]
	v_fma_f64 v[10:11], v[110:111], -0.5, v[10:11]
	v_add_f64 v[68:69], v[66:67], v[68:69]
	v_fma_f64 v[70:71], v[70:71], -0.5, v[4:5]
	v_fma_f64 v[58:59], v[112:113], s[2:3], v[58:59]
	v_fma_f64 v[110:111], v[80:81], s[6:7], v[10:11]
	;; [unrolled: 1-line block ×3, first 2 shown]
	v_add_f64 v[112:113], v[100:101], -v[102:103]
	v_add_f64 v[80:81], v[108:109], -v[106:107]
	v_fma_f64 v[110:111], v[76:77], s[4:5], v[110:111]
	v_fma_f64 v[10:11], v[76:77], s[8:9], v[10:11]
	v_add_f64 v[76:77], v[74:75], -v[78:79]
	v_fma_f64 v[66:67], v[68:69], s[2:3], v[110:111]
	v_add_f64 v[110:111], v[82:83], -v[104:105]
	v_add_f64 v[80:81], v[76:77], v[80:81]
	v_fma_f64 v[10:11], v[68:69], s[2:3], v[10:11]
	v_add_f64 v[68:69], v[4:5], v[74:75]
	v_fma_f64 v[72:73], v[110:111], s[6:7], v[70:71]
	v_fma_f64 v[70:71], v[110:111], s[14:15], v[70:71]
	v_add_f64 v[68:69], v[68:69], v[78:79]
	v_fma_f64 v[72:73], v[112:113], s[8:9], v[72:73]
	v_fma_f64 v[70:71], v[112:113], s[4:5], v[70:71]
	v_add_f64 v[68:69], v[68:69], v[106:107]
	v_add_f64 v[106:107], v[78:79], -v[106:107]
	v_fma_f64 v[76:77], v[80:81], s[2:3], v[72:73]
	v_fma_f64 v[72:73], v[80:81], s[2:3], v[70:71]
	v_add_f64 v[70:71], v[74:75], v[108:109]
	v_add_f64 v[68:69], v[68:69], v[108:109]
	v_add_f64 v[108:109], v[74:75], -v[108:109]
	v_add_f64 v[80:81], v[78:79], -v[74:75]
	;; [unrolled: 1-line block ×3, first 2 shown]
	v_fma_f64 v[4:5], v[70:71], -0.5, v[4:5]
	v_add_f64 v[114:115], v[80:81], v[114:115]
	v_fma_f64 v[70:71], v[112:113], s[14:15], v[4:5]
	v_fma_f64 v[4:5], v[112:113], s[6:7], v[4:5]
	v_add_f64 v[112:113], v[104:105], -v[102:103]
	v_fma_f64 v[70:71], v[110:111], s[8:9], v[70:71]
	v_fma_f64 v[4:5], v[110:111], s[4:5], v[4:5]
	v_add_f64 v[110:111], v[100:101], v[102:103]
	v_add_f64 v[112:113], v[78:79], v[112:113]
	v_fma_f64 v[80:81], v[114:115], s[2:3], v[70:71]
	v_add_f64 v[70:71], v[6:7], v[82:83]
	v_fma_f64 v[110:111], v[110:111], -0.5, v[6:7]
	v_fma_f64 v[4:5], v[114:115], s[2:3], v[4:5]
	v_add_f64 v[114:115], v[140:141], -v[98:99]
	v_add_f64 v[70:71], v[70:71], v[100:101]
	v_fma_f64 v[74:75], v[108:109], s[14:15], v[110:111]
	v_add_f64 v[70:71], v[70:71], v[102:103]
	v_fma_f64 v[74:75], v[106:107], s[4:5], v[74:75]
	;; [unrolled: 2-line block ×3, first 2 shown]
	v_fma_f64 v[74:75], v[108:109], s[6:7], v[110:111]
	v_add_f64 v[110:111], v[82:83], v[104:105]
	v_add_f64 v[82:83], v[100:101], -v[82:83]
	v_add_f64 v[100:101], v[102:103], -v[104:105]
	v_add_f64 v[102:103], v[94:95], v[140:141]
	v_fma_f64 v[74:75], v[106:107], s[8:9], v[74:75]
	v_fma_f64 v[6:7], v[110:111], -0.5, v[6:7]
	v_add_f64 v[100:101], v[82:83], v[100:101]
	v_fma_f64 v[102:103], v[102:103], -0.5, v[0:1]
	v_fma_f64 v[74:75], v[112:113], s[2:3], v[74:75]
	v_fma_f64 v[110:111], v[106:107], s[6:7], v[6:7]
	;; [unrolled: 1-line block ×3, first 2 shown]
	v_add_f64 v[106:107], v[84:85], -v[90:91]
	v_add_f64 v[112:113], v[98:99], -v[140:141]
	v_fma_f64 v[110:111], v[108:109], s[4:5], v[110:111]
	v_fma_f64 v[6:7], v[108:109], s[8:9], v[6:7]
	;; [unrolled: 1-line block ×3, first 2 shown]
	v_add_f64 v[108:109], v[92:93], -v[94:95]
	v_fma_f64 v[102:103], v[106:107], s[14:15], v[102:103]
	v_fma_f64 v[82:83], v[100:101], s[2:3], v[110:111]
	v_add_f64 v[110:111], v[86:87], -v[88:89]
	v_fma_f64 v[6:7], v[100:101], s[2:3], v[6:7]
	v_add_f64 v[108:109], v[108:109], v[112:113]
	v_add_f64 v[100:101], v[0:1], v[92:93]
	v_add_f64 v[112:113], v[94:95], -v[92:93]
	v_fma_f64 v[104:105], v[110:111], s[8:9], v[104:105]
	v_fma_f64 v[102:103], v[110:111], s[4:5], v[102:103]
	v_add_f64 v[100:101], v[100:101], v[94:95]
	v_add_f64 v[112:113], v[112:113], v[114:115]
	v_add_f64 v[94:95], v[94:95], -v[140:141]
	v_add_f64 v[114:115], v[90:91], -v[88:89]
	v_fma_f64 v[104:105], v[108:109], s[2:3], v[104:105]
	v_fma_f64 v[108:109], v[108:109], s[2:3], v[102:103]
	v_add_f64 v[102:103], v[92:93], v[98:99]
	v_add_f64 v[100:101], v[100:101], v[140:141]
	v_add_f64 v[92:93], v[92:93], -v[98:99]
	v_fma_f64 v[102:103], v[102:103], -0.5, v[0:1]
	v_add_f64 v[100:101], v[100:101], v[98:99]
	v_fma_f64 v[0:1], v[110:111], s[14:15], v[102:103]
	v_fma_f64 v[102:103], v[110:111], s[6:7], v[102:103]
	;; [unrolled: 1-line block ×4, first 2 shown]
	v_add_f64 v[106:107], v[86:87], v[88:89]
	v_fma_f64 v[0:1], v[112:113], s[2:3], v[0:1]
	v_fma_f64 v[112:113], v[112:113], s[2:3], v[102:103]
	v_fma_f64 v[110:111], v[106:107], -0.5, v[2:3]
	v_add_f64 v[106:107], v[84:85], -v[86:87]
	v_add_f64 v[102:103], v[2:3], v[84:85]
	v_fma_f64 v[98:99], v[92:93], s[14:15], v[110:111]
	v_add_f64 v[114:115], v[106:107], v[114:115]
	v_add_f64 v[102:103], v[102:103], v[86:87]
	v_fma_f64 v[98:99], v[94:95], s[4:5], v[98:99]
	v_add_f64 v[102:103], v[102:103], v[88:89]
	v_fma_f64 v[106:107], v[114:115], s[2:3], v[98:99]
	v_fma_f64 v[98:99], v[92:93], s[6:7], v[110:111]
	v_add_f64 v[102:103], v[102:103], v[90:91]
	v_fma_f64 v[98:99], v[94:95], s[8:9], v[98:99]
	v_fma_f64 v[110:111], v[114:115], s[2:3], v[98:99]
	v_add_f64 v[98:99], v[84:85], v[90:91]
	v_add_f64 v[84:85], v[86:87], -v[84:85]
	v_add_f64 v[86:87], v[88:89], -v[90:91]
	v_fma_f64 v[98:99], v[98:99], -0.5, v[2:3]
	v_add_f64 v[84:85], v[84:85], v[86:87]
	v_fma_f64 v[2:3], v[94:95], s[6:7], v[98:99]
	v_fma_f64 v[86:87], v[94:95], s[14:15], v[98:99]
	;; [unrolled: 1-line block ×6, first 2 shown]
	v_mov_b32_e32 v84, 0x7d
	v_mul_u32_u24_sdwa v85, v142, v84 dst_sel:DWORD dst_unused:UNUSED_PAD src0_sel:WORD_0 src1_sel:DWORD
	v_add_lshl_u32 v135, v85, v143, 4
	ds_write_b128 v135, v[12:15]
	ds_write_b128 v135, v[24:27] offset:400
	ds_write_b128 v135, v[44:47] offset:800
	;; [unrolled: 1-line block ×4, first 2 shown]
	v_mul_u32_u24_sdwa v12, v119, v84 dst_sel:DWORD dst_unused:UNUSED_PAD src0_sel:WORD_0 src1_sel:DWORD
	v_add_lshl_u32 v12, v12, v148, 4
	buffer_store_dword v12, off, s[20:23], 0 offset:1208 ; 4-byte Folded Spill
	ds_write_b128 v12, v[28:31]
	ds_write_b128 v12, v[40:43] offset:400
	ds_write_b128 v12, v[48:51] offset:800
	ds_write_b128 v12, v[16:19] offset:1200
	ds_write_b128 v12, v[32:35] offset:1600
	v_mad_u16 v12, 0x7d, v149, v150
	v_lshlrev_b32_sdwa v12, v172, v12 dst_sel:DWORD dst_unused:UNUSED_PAD src0_sel:DWORD src1_sel:WORD_0
	buffer_store_dword v12, off, s[20:23], 0 offset:1200 ; 4-byte Folded Spill
	ds_write_b128 v12, v[52:55]
	ds_write_b128 v12, v[60:63] offset:400
	ds_write_b128 v12, v[64:67] offset:800
	ds_write_b128 v12, v[8:11] offset:1200
	ds_write_b128 v12, v[56:59] offset:1600
	v_mad_u16 v8, 0x7d, v151, v156
	v_lshlrev_b32_sdwa v8, v172, v8 dst_sel:DWORD dst_unused:UNUSED_PAD src0_sel:DWORD src1_sel:WORD_0
	;; [unrolled: 8-line block ×3, first 2 shown]
	buffer_store_dword v4, off, s[20:23], 0 offset:556 ; 4-byte Folded Spill
	ds_write_b128 v4, v[100:103]
	ds_write_b128 v4, v[104:107] offset:400
	ds_write_b128 v4, v[0:3] offset:800
	;; [unrolled: 1-line block ×4, first 2 shown]
	v_lshlrev_b32_e32 v102, 6, v177
	s_waitcnt lgkmcnt(0)
	s_waitcnt_vscnt null, 0x0
	s_barrier
	buffer_gl0_inv
	ds_read_b128 v[24:27], v118
	ds_read_b128 v[56:59], v118 offset:10000
	ds_read_b128 v[60:63], v118 offset:20000
	;; [unrolled: 1-line block ×24, first 2 shown]
	s_clause 0x3
	global_load_dwordx4 v[160:163], v102, s[10:11] offset:1968
	global_load_dwordx4 v[156:159], v102, s[10:11] offset:1952
	;; [unrolled: 1-line block ×4, first 2 shown]
	v_add_co_u32 v119, s16, s10, v102
	v_add_co_ci_u32_e64 v132, null, s11, 0, s16
	s_waitcnt vmcnt(0) lgkmcnt(23)
	v_mul_f64 v[102:103], v[58:59], v[142:143]
	v_fma_f64 v[174:175], v[56:57], v[140:141], -v[102:103]
	v_mul_f64 v[56:57], v[56:57], v[142:143]
	v_fma_f64 v[120:121], v[58:59], v[140:141], v[56:57]
	s_waitcnt lgkmcnt(22)
	v_mul_f64 v[56:57], v[62:63], v[150:151]
	s_waitcnt lgkmcnt(15)
	v_mul_f64 v[58:59], v[86:87], v[162:163]
	v_fma_f64 v[176:177], v[60:61], v[148:149], -v[56:57]
	v_mul_f64 v[56:57], v[60:61], v[150:151]
	v_fma_f64 v[128:129], v[84:85], v[160:161], -v[58:59]
	v_mul_f64 v[58:59], v[84:85], v[162:163]
	v_mov_b32_e32 v84, 0x625
	v_fma_f64 v[124:125], v[62:63], v[148:149], v[56:57]
	v_mul_f64 v[56:57], v[66:67], v[158:159]
	v_fma_f64 v[110:111], v[86:87], v[160:161], v[58:59]
	v_mul_u32_u24_sdwa v58, v165, v84 dst_sel:DWORD dst_unused:UNUSED_PAD src0_sel:WORD_0 src1_sel:DWORD
	v_lshrrev_b32_e32 v58, 16, v58
	v_sub_nc_u16 v59, v165, v58
	v_lshrrev_b16 v59, 1, v59
	v_fma_f64 v[178:179], v[64:65], v[156:157], -v[56:57]
	v_mul_f64 v[56:57], v[64:65], v[158:159]
	v_add_nc_u16 v58, v59, v58
	v_lshrrev_b16 v58, 6, v58
	v_mul_lo_u16 v58, 0x7d, v58
	v_sub_nc_u16 v133, v165, v58
	v_lshlrev_b16 v58, 6, v133
	v_fma_f64 v[122:123], v[66:67], v[156:157], v[56:57]
	v_mul_f64 v[56:57], v[70:71], v[162:163]
	v_and_b32_e32 v58, 0xffff, v58
	v_add_co_u32 v58, s16, s10, v58
	v_add_co_ci_u32_e64 v59, null, s11, 0, s16
	v_fma_f64 v[180:181], v[68:69], v[160:161], -v[56:57]
	v_mul_f64 v[56:57], v[68:69], v[162:163]
	v_fma_f64 v[126:127], v[70:71], v[160:161], v[56:57]
	v_mul_f64 v[56:57], v[74:75], v[142:143]
	v_fma_f64 v[112:113], v[72:73], v[140:141], -v[56:57]
	v_mul_f64 v[56:57], v[72:73], v[142:143]
	v_fma_f64 v[60:61], v[74:75], v[140:141], v[56:57]
	v_mul_f64 v[56:57], v[78:79], v[150:151]
	;; [unrolled: 4-line block ×3, first 2 shown]
	v_fma_f64 v[116:117], v[80:81], v[156:157], -v[56:57]
	v_mul_f64 v[56:57], v[80:81], v[158:159]
	v_fma_f64 v[56:57], v[82:83], v[156:157], v[56:57]
	s_clause 0x3
	global_load_dwordx4 v[72:75], v[58:59], off offset:1968
	global_load_dwordx4 v[76:79], v[58:59], off offset:1952
	;; [unrolled: 1-line block ×4, first 2 shown]
	s_waitcnt vmcnt(0) lgkmcnt(13)
	v_mul_f64 v[58:59], v[90:91], v[82:83]
	v_fma_f64 v[58:59], v[88:89], v[80:81], -v[58:59]
	buffer_store_dword v80, off, s[20:23], 0 offset:564 ; 4-byte Folded Spill
	buffer_store_dword v81, off, s[20:23], 0 offset:568 ; 4-byte Folded Spill
	;; [unrolled: 1-line block ×4, first 2 shown]
	v_mul_f64 v[62:63], v[88:89], v[82:83]
	v_mov_b32_e32 v88, v75
	v_mov_b32_e32 v87, v74
	;; [unrolled: 1-line block ×4, first 2 shown]
	v_fma_f64 v[66:67], v[90:91], v[80:81], v[62:63]
	v_mov_b32_e32 v83, v71
	v_mov_b32_e32 v82, v70
	;; [unrolled: 1-line block ×4, first 2 shown]
	buffer_store_dword v80, off, s[20:23], 0 offset:580 ; 4-byte Folded Spill
	buffer_store_dword v81, off, s[20:23], 0 offset:584 ; 4-byte Folded Spill
	;; [unrolled: 1-line block ×4, first 2 shown]
	s_waitcnt lgkmcnt(12)
	v_mul_f64 v[62:63], v[94:95], v[82:83]
	v_mul_f64 v[68:69], v[92:93], v[82:83]
	v_fma_f64 v[62:63], v[92:93], v[80:81], -v[62:63]
	v_fma_f64 v[70:71], v[94:95], v[80:81], v[68:69]
	v_mov_b32_e32 v81, v79
	v_mov_b32_e32 v80, v78
	;; [unrolled: 1-line block ×4, first 2 shown]
	buffer_store_dword v78, off, s[20:23], 0 offset:596 ; 4-byte Folded Spill
	buffer_store_dword v79, off, s[20:23], 0 offset:600 ; 4-byte Folded Spill
	;; [unrolled: 1-line block ×8, first 2 shown]
	s_waitcnt lgkmcnt(11)
	v_mul_f64 v[68:69], v[100:101], v[80:81]
	s_waitcnt lgkmcnt(10)
	v_mul_f64 v[72:73], v[54:55], v[87:88]
	v_fma_f64 v[76:77], v[98:99], v[78:79], -v[68:69]
	v_mul_f64 v[68:69], v[98:99], v[80:81]
	v_fma_f64 v[80:81], v[52:53], v[85:86], -v[72:73]
	v_mul_f64 v[52:53], v[52:53], v[87:88]
	v_fma_f64 v[68:69], v[100:101], v[78:79], v[68:69]
	v_fma_f64 v[72:73], v[54:55], v[85:86], v[52:53]
	v_mul_u32_u24_sdwa v52, v166, v84 dst_sel:DWORD dst_unused:UNUSED_PAD src0_sel:WORD_0 src1_sel:DWORD
	v_lshrrev_b32_e32 v52, 16, v52
	v_sub_nc_u16 v53, v166, v52
	v_lshrrev_b16 v53, 1, v53
	v_add_nc_u16 v52, v53, v52
	v_lshrrev_b16 v52, 6, v52
	v_mul_lo_u16 v52, 0x7d, v52
	v_sub_nc_u16 v134, v166, v52
	v_lshlrev_b16 v52, 6, v134
	v_and_b32_e32 v52, 0xffff, v52
	v_add_co_u32 v52, s16, s10, v52
	v_add_co_ci_u32_e64 v53, null, s11, 0, s16
	s_clause 0x3
	global_load_dwordx4 v[85:88], v[52:53], off offset:1968
	global_load_dwordx4 v[89:92], v[52:53], off offset:1952
	;; [unrolled: 1-line block ×4, first 2 shown]
	s_waitcnt vmcnt(0) lgkmcnt(8)
	v_mul_f64 v[52:53], v[50:51], v[104:105]
	v_fma_f64 v[74:75], v[48:49], v[102:103], -v[52:53]
	buffer_store_dword v102, off, s[20:23], 0 offset:632 ; 4-byte Folded Spill
	buffer_store_dword v103, off, s[20:23], 0 offset:636 ; 4-byte Folded Spill
	buffer_store_dword v104, off, s[20:23], 0 offset:640 ; 4-byte Folded Spill
	buffer_store_dword v105, off, s[20:23], 0 offset:644 ; 4-byte Folded Spill
	buffer_store_dword v98, off, s[20:23], 0 offset:648 ; 4-byte Folded Spill
	buffer_store_dword v99, off, s[20:23], 0 offset:652 ; 4-byte Folded Spill
	buffer_store_dword v100, off, s[20:23], 0 offset:656 ; 4-byte Folded Spill
	buffer_store_dword v101, off, s[20:23], 0 offset:660 ; 4-byte Folded Spill
	buffer_store_dword v89, off, s[20:23], 0 offset:664 ; 4-byte Folded Spill
	buffer_store_dword v90, off, s[20:23], 0 offset:668 ; 4-byte Folded Spill
	buffer_store_dword v91, off, s[20:23], 0 offset:672 ; 4-byte Folded Spill
	buffer_store_dword v92, off, s[20:23], 0 offset:676 ; 4-byte Folded Spill
	buffer_store_dword v85, off, s[20:23], 0 offset:696 ; 4-byte Folded Spill
	buffer_store_dword v86, off, s[20:23], 0 offset:700 ; 4-byte Folded Spill
	buffer_store_dword v87, off, s[20:23], 0 offset:704 ; 4-byte Folded Spill
	buffer_store_dword v88, off, s[20:23], 0 offset:708 ; 4-byte Folded Spill
	v_mul_f64 v[48:49], v[48:49], v[104:105]
	v_fma_f64 v[82:83], v[50:51], v[102:103], v[48:49]
	s_waitcnt lgkmcnt(7)
	v_mul_f64 v[48:49], v[46:47], v[100:101]
	v_fma_f64 v[78:79], v[44:45], v[98:99], -v[48:49]
	v_mul_f64 v[44:45], v[44:45], v[100:101]
	v_fma_f64 v[100:101], v[46:47], v[98:99], v[44:45]
	s_waitcnt lgkmcnt(6)
	v_mul_f64 v[44:45], v[38:39], v[91:92]
	v_fma_f64 v[106:107], v[36:37], v[89:90], -v[44:45]
	v_mul_f64 v[36:37], v[36:37], v[91:92]
	v_fma_f64 v[102:103], v[38:39], v[89:90], v[36:37]
	s_waitcnt lgkmcnt(5)
	v_mul_f64 v[36:37], v[34:35], v[87:88]
	v_add_f64 v[38:39], v[122:123], -v[126:127]
	v_fma_f64 v[108:109], v[32:33], v[85:86], -v[36:37]
	v_mul_f64 v[32:33], v[32:33], v[87:88]
	v_fma_f64 v[104:105], v[34:35], v[85:86], v[32:33]
	v_mul_u32_u24_sdwa v32, v167, v84 dst_sel:DWORD dst_unused:UNUSED_PAD src0_sel:WORD_0 src1_sel:DWORD
	v_lshrrev_b32_e32 v32, 16, v32
	v_sub_nc_u16 v33, v167, v32
	v_lshrrev_b16 v33, 1, v33
	v_add_nc_u16 v32, v33, v32
	v_lshrrev_b16 v32, 6, v32
	v_mul_lo_u16 v32, 0x7d, v32
	v_sub_nc_u16 v173, v167, v32
	v_lshlrev_b16 v32, 6, v173
	v_and_b32_e32 v32, 0xffff, v32
	v_add_co_u32 v32, s16, s10, v32
	v_add_co_ci_u32_e64 v33, null, s11, 0, s16
	s_clause 0x3
	global_load_dwordx4 v[34:37], v[32:33], off offset:1968
	global_load_dwordx4 v[44:47], v[32:33], off offset:1952
	;; [unrolled: 1-line block ×4, first 2 shown]
	s_waitcnt vmcnt(0) lgkmcnt(3)
	v_mul_f64 v[32:33], v[30:31], v[54:55]
	v_fma_f64 v[92:93], v[28:29], v[52:53], -v[32:33]
	buffer_store_dword v52, off, s[20:23], 0 offset:772 ; 4-byte Folded Spill
	buffer_store_dword v53, off, s[20:23], 0 offset:776 ; 4-byte Folded Spill
	buffer_store_dword v54, off, s[20:23], 0 offset:780 ; 4-byte Folded Spill
	buffer_store_dword v55, off, s[20:23], 0 offset:784 ; 4-byte Folded Spill
	buffer_store_dword v48, off, s[20:23], 0 offset:792 ; 4-byte Folded Spill
	buffer_store_dword v49, off, s[20:23], 0 offset:796 ; 4-byte Folded Spill
	buffer_store_dword v50, off, s[20:23], 0 offset:800 ; 4-byte Folded Spill
	buffer_store_dword v51, off, s[20:23], 0 offset:804 ; 4-byte Folded Spill
	buffer_store_dword v44, off, s[20:23], 0 offset:808 ; 4-byte Folded Spill
	buffer_store_dword v45, off, s[20:23], 0 offset:812 ; 4-byte Folded Spill
	buffer_store_dword v46, off, s[20:23], 0 offset:816 ; 4-byte Folded Spill
	buffer_store_dword v47, off, s[20:23], 0 offset:820 ; 4-byte Folded Spill
	buffer_store_dword v34, off, s[20:23], 0 offset:824 ; 4-byte Folded Spill
	buffer_store_dword v35, off, s[20:23], 0 offset:828 ; 4-byte Folded Spill
	buffer_store_dword v36, off, s[20:23], 0 offset:832 ; 4-byte Folded Spill
	buffer_store_dword v37, off, s[20:23], 0 offset:836 ; 4-byte Folded Spill
	v_add_f64 v[32:33], v[120:121], -v[124:125]
	s_waitcnt lgkmcnt(0)
	s_waitcnt_vscnt null, 0x0
	s_barrier
	buffer_gl0_inv
	v_mul_f64 v[28:29], v[28:29], v[54:55]
	v_add_f64 v[54:55], v[114:115], -v[116:117]
	v_fma_f64 v[84:85], v[30:31], v[52:53], v[28:29]
	v_mul_f64 v[28:29], v[22:23], v[50:51]
	v_add_f64 v[30:31], v[178:179], -v[180:181]
	v_add_f64 v[52:53], v[112:113], -v[128:129]
	v_fma_f64 v[94:95], v[20:21], v[48:49], -v[28:29]
	v_mul_f64 v[20:21], v[20:21], v[50:51]
	v_add_f64 v[28:29], v[180:181], -v[178:179]
	v_add_f64 v[50:51], v[116:117], -v[128:129]
	v_fma_f64 v[86:87], v[22:23], v[48:49], v[20:21]
	v_mul_f64 v[20:21], v[18:19], v[46:47]
	v_add_f64 v[22:23], v[124:125], -v[122:123]
	v_add_f64 v[48:49], v[128:129], -v[116:117]
	v_fma_f64 v[130:131], v[16:17], v[44:45], -v[20:21]
	v_mul_f64 v[16:17], v[16:17], v[46:47]
	v_add_f64 v[20:21], v[174:175], -v[176:177]
	v_add_f64 v[46:47], v[64:65], -v[56:57]
	v_fma_f64 v[88:89], v[18:19], v[44:45], v[16:17]
	v_mul_f64 v[16:17], v[10:11], v[36:37]
	v_add_f64 v[18:19], v[120:121], -v[126:127]
	v_add_f64 v[20:21], v[20:21], v[28:29]
	v_add_f64 v[28:29], v[176:177], -v[174:175]
	v_add_f64 v[44:45], v[112:113], -v[114:115]
	v_fma_f64 v[98:99], v[8:9], v[34:35], -v[16:17]
	v_mul_f64 v[8:9], v[8:9], v[36:37]
	v_add_f64 v[28:29], v[28:29], v[30:31]
	v_add_f64 v[30:31], v[176:177], -v[178:179]
	v_add_f64 v[48:49], v[44:45], v[48:49]
	v_fma_f64 v[90:91], v[10:11], v[34:35], v[8:9]
	v_add_f64 v[10:11], v[176:177], v[178:179]
	v_add_f64 v[8:9], v[24:25], v[174:175]
	v_add_f64 v[34:35], v[126:127], -v[122:123]
	v_fma_f64 v[10:11], v[10:11], -0.5, v[24:25]
	v_add_f64 v[8:9], v[8:9], v[176:177]
	v_add_f64 v[32:33], v[32:33], v[34:35]
	v_add_f64 v[34:35], v[124:125], -v[120:121]
	v_fma_f64 v[16:17], v[18:19], s[6:7], v[10:11]
	v_fma_f64 v[10:11], v[18:19], s[14:15], v[10:11]
	v_add_f64 v[8:9], v[8:9], v[178:179]
	v_add_f64 v[34:35], v[34:35], v[38:39]
	v_fma_f64 v[16:17], v[22:23], s[8:9], v[16:17]
	v_fma_f64 v[10:11], v[22:23], s[4:5], v[10:11]
	v_add_f64 v[8:9], v[8:9], v[180:181]
	v_fma_f64 v[16:17], v[20:21], s[2:3], v[16:17]
	v_fma_f64 v[20:21], v[20:21], s[2:3], v[10:11]
	v_add_f64 v[10:11], v[174:175], v[180:181]
	v_fma_f64 v[10:11], v[10:11], -0.5, v[24:25]
	v_fma_f64 v[24:25], v[22:23], s[14:15], v[10:11]
	v_fma_f64 v[10:11], v[22:23], s[6:7], v[10:11]
	;; [unrolled: 1-line block ×4, first 2 shown]
	v_add_f64 v[18:19], v[124:125], v[122:123]
	v_fma_f64 v[36:37], v[28:29], s[2:3], v[24:25]
	v_fma_f64 v[24:25], v[28:29], s[2:3], v[10:11]
	v_fma_f64 v[22:23], v[18:19], -0.5, v[26:27]
	v_add_f64 v[28:29], v[174:175], -v[180:181]
	v_add_f64 v[10:11], v[26:27], v[120:121]
	v_fma_f64 v[18:19], v[28:29], s[14:15], v[22:23]
	v_fma_f64 v[22:23], v[28:29], s[6:7], v[22:23]
	v_add_f64 v[10:11], v[10:11], v[124:125]
	v_fma_f64 v[18:19], v[30:31], s[4:5], v[18:19]
	v_fma_f64 v[22:23], v[30:31], s[8:9], v[22:23]
	;; [unrolled: 3-line block ×3, first 2 shown]
	v_add_f64 v[32:33], v[120:121], v[126:127]
	v_add_f64 v[10:11], v[10:11], v[126:127]
	v_fma_f64 v[26:27], v[32:33], -0.5, v[26:27]
	v_fma_f64 v[32:33], v[30:31], s[6:7], v[26:27]
	v_fma_f64 v[26:27], v[30:31], s[14:15], v[26:27]
	v_add_f64 v[30:31], v[114:115], v[116:117]
	v_fma_f64 v[32:33], v[28:29], s[4:5], v[32:33]
	v_fma_f64 v[26:27], v[28:29], s[8:9], v[26:27]
	v_fma_f64 v[30:31], v[30:31], -0.5, v[40:41]
	v_add_f64 v[28:29], v[40:41], v[112:113]
	v_fma_f64 v[38:39], v[34:35], s[2:3], v[32:33]
	v_fma_f64 v[26:27], v[34:35], s[2:3], v[26:27]
	v_add_f64 v[34:35], v[60:61], -v[110:111]
	v_add_f64 v[28:29], v[28:29], v[114:115]
	v_fma_f64 v[32:33], v[34:35], s[6:7], v[30:31]
	v_fma_f64 v[30:31], v[34:35], s[14:15], v[30:31]
	v_add_f64 v[28:29], v[28:29], v[116:117]
	v_fma_f64 v[32:33], v[46:47], s[8:9], v[32:33]
	v_fma_f64 v[30:31], v[46:47], s[4:5], v[30:31]
	;; [unrolled: 3-line block ×3, first 2 shown]
	v_add_f64 v[30:31], v[112:113], v[128:129]
	v_add_f64 v[48:49], v[114:115], -v[112:113]
	v_add_f64 v[112:113], v[110:111], -v[56:57]
	;; [unrolled: 1-line block ×3, first 2 shown]
	v_fma_f64 v[30:31], v[30:31], -0.5, v[40:41]
	v_add_f64 v[50:51], v[48:49], v[50:51]
	v_fma_f64 v[40:41], v[46:47], s[14:15], v[30:31]
	v_fma_f64 v[30:31], v[46:47], s[6:7], v[30:31]
	;; [unrolled: 1-line block ×4, first 2 shown]
	v_add_f64 v[34:35], v[64:65], v[56:57]
	v_fma_f64 v[48:49], v[50:51], s[2:3], v[40:41]
	v_fma_f64 v[40:41], v[50:51], s[2:3], v[30:31]
	v_fma_f64 v[34:35], v[34:35], -0.5, v[42:43]
	v_add_f64 v[50:51], v[60:61], -v[64:65]
	v_add_f64 v[30:31], v[42:43], v[60:61]
	v_fma_f64 v[46:47], v[52:53], s[14:15], v[34:35]
	v_fma_f64 v[34:35], v[52:53], s[6:7], v[34:35]
	v_add_f64 v[50:51], v[50:51], v[112:113]
	v_add_f64 v[30:31], v[30:31], v[64:65]
	v_add_f64 v[112:113], v[70:71], -v[68:69]
	v_fma_f64 v[46:47], v[54:55], s[4:5], v[46:47]
	v_fma_f64 v[34:35], v[54:55], s[8:9], v[34:35]
	v_add_f64 v[30:31], v[30:31], v[56:57]
	v_add_f64 v[56:57], v[56:57], -v[110:111]
	v_fma_f64 v[46:47], v[50:51], s[2:3], v[46:47]
	v_fma_f64 v[34:35], v[50:51], s[2:3], v[34:35]
	v_add_f64 v[50:51], v[60:61], v[110:111]
	v_add_f64 v[60:61], v[64:65], -v[60:61]
	v_add_f64 v[30:31], v[30:31], v[110:111]
	v_add_f64 v[110:111], v[66:67], -v[72:73]
	v_add_f64 v[64:65], v[80:81], -v[76:77]
	v_fma_f64 v[42:43], v[50:51], -0.5, v[42:43]
	v_add_f64 v[56:57], v[60:61], v[56:57]
	v_add_f64 v[60:61], v[58:59], -v[62:63]
	v_fma_f64 v[50:51], v[54:55], s[6:7], v[42:43]
	v_fma_f64 v[42:43], v[54:55], s[14:15], v[42:43]
	v_add_f64 v[54:55], v[62:63], v[76:77]
	v_add_f64 v[64:65], v[60:61], v[64:65]
	v_fma_f64 v[50:51], v[52:53], s[4:5], v[50:51]
	v_fma_f64 v[42:43], v[52:53], s[8:9], v[42:43]
	v_fma_f64 v[54:55], v[54:55], -0.5, v[12:13]
	v_add_f64 v[52:53], v[12:13], v[58:59]
	v_fma_f64 v[50:51], v[56:57], s[2:3], v[50:51]
	v_fma_f64 v[42:43], v[56:57], s[2:3], v[42:43]
	;; [unrolled: 1-line block ×4, first 2 shown]
	v_add_f64 v[52:53], v[52:53], v[62:63]
	ds_write_b128 v118, v[8:11]
	ds_write_b128 v118, v[16:19] offset:2000
	ds_write_b128 v118, v[36:39] offset:4000
	;; [unrolled: 1-line block ×9, first 2 shown]
	v_lshlrev_b32_sdwa v8, v172, v133 dst_sel:DWORD dst_unused:UNUSED_PAD src0_sel:DWORD src1_sel:WORD_0
	buffer_store_dword v8, off, s[20:23], 0 offset:1000 ; 4-byte Folded Spill
	v_fma_f64 v[56:57], v[112:113], s[8:9], v[56:57]
	v_fma_f64 v[54:55], v[112:113], s[4:5], v[54:55]
	v_add_f64 v[52:53], v[52:53], v[76:77]
	v_add_f64 v[76:77], v[62:63], -v[76:77]
	v_fma_f64 v[60:61], v[64:65], s[2:3], v[56:57]
	v_fma_f64 v[56:57], v[64:65], s[2:3], v[54:55]
	v_add_f64 v[54:55], v[58:59], v[80:81]
	v_add_f64 v[52:53], v[52:53], v[80:81]
	v_add_f64 v[80:81], v[58:59], -v[80:81]
	v_add_f64 v[64:65], v[62:63], -v[58:59]
	;; [unrolled: 1-line block ×3, first 2 shown]
	v_fma_f64 v[12:13], v[54:55], -0.5, v[12:13]
	v_add_f64 v[114:115], v[64:65], v[114:115]
	v_fma_f64 v[54:55], v[112:113], s[14:15], v[12:13]
	v_fma_f64 v[12:13], v[112:113], s[6:7], v[12:13]
	v_add_f64 v[112:113], v[72:73], -v[68:69]
	v_fma_f64 v[54:55], v[110:111], s[8:9], v[54:55]
	v_fma_f64 v[12:13], v[110:111], s[4:5], v[12:13]
	v_add_f64 v[110:111], v[70:71], v[68:69]
	v_add_f64 v[112:113], v[62:63], v[112:113]
	v_fma_f64 v[64:65], v[114:115], s[2:3], v[54:55]
	v_add_f64 v[54:55], v[14:15], v[66:67]
	v_fma_f64 v[110:111], v[110:111], -0.5, v[14:15]
	v_fma_f64 v[12:13], v[114:115], s[2:3], v[12:13]
	v_add_f64 v[114:115], v[106:107], -v[108:109]
	v_add_f64 v[54:55], v[54:55], v[70:71]
	v_fma_f64 v[58:59], v[80:81], s[14:15], v[110:111]
	v_add_f64 v[54:55], v[54:55], v[68:69]
	v_fma_f64 v[58:59], v[76:77], s[4:5], v[58:59]
	v_add_f64 v[68:69], v[68:69], -v[72:73]
	v_add_f64 v[54:55], v[54:55], v[72:73]
	v_fma_f64 v[62:63], v[112:113], s[2:3], v[58:59]
	v_fma_f64 v[58:59], v[80:81], s[6:7], v[110:111]
	v_add_f64 v[110:111], v[66:67], v[72:73]
	v_add_f64 v[66:67], v[70:71], -v[66:67]
	v_add_f64 v[70:71], v[78:79], v[106:107]
	v_fma_f64 v[58:59], v[76:77], s[8:9], v[58:59]
	v_fma_f64 v[14:15], v[110:111], -0.5, v[14:15]
	v_add_f64 v[68:69], v[66:67], v[68:69]
	v_fma_f64 v[70:71], v[70:71], -0.5, v[4:5]
	v_fma_f64 v[58:59], v[112:113], s[2:3], v[58:59]
	v_fma_f64 v[110:111], v[76:77], s[6:7], v[14:15]
	;; [unrolled: 1-line block ×3, first 2 shown]
	v_add_f64 v[112:113], v[100:101], -v[102:103]
	v_add_f64 v[76:77], v[74:75], -v[78:79]
	v_fma_f64 v[110:111], v[80:81], s[4:5], v[110:111]
	v_fma_f64 v[14:15], v[80:81], s[8:9], v[14:15]
	v_add_f64 v[80:81], v[108:109], -v[106:107]
	v_fma_f64 v[66:67], v[68:69], s[2:3], v[110:111]
	v_add_f64 v[110:111], v[82:83], -v[104:105]
	v_add_f64 v[80:81], v[76:77], v[80:81]
	v_fma_f64 v[14:15], v[68:69], s[2:3], v[14:15]
	v_add_f64 v[68:69], v[4:5], v[74:75]
	ds_write_b128 v8, v[52:55] offset:20000
	ds_write_b128 v8, v[60:63] offset:22000
	;; [unrolled: 1-line block ×5, first 2 shown]
	v_fma_f64 v[72:73], v[110:111], s[6:7], v[70:71]
	v_fma_f64 v[70:71], v[110:111], s[14:15], v[70:71]
	v_lshlrev_b32_sdwa v8, v172, v134 dst_sel:DWORD dst_unused:UNUSED_PAD src0_sel:DWORD src1_sel:WORD_0
	v_add_f64 v[68:69], v[68:69], v[78:79]
	buffer_store_dword v8, off, s[20:23], 0 offset:788 ; 4-byte Folded Spill
	v_fma_f64 v[72:73], v[112:113], s[8:9], v[72:73]
	v_fma_f64 v[70:71], v[112:113], s[4:5], v[70:71]
	v_add_f64 v[68:69], v[68:69], v[106:107]
	v_add_f64 v[106:107], v[78:79], -v[106:107]
	v_fma_f64 v[76:77], v[80:81], s[2:3], v[72:73]
	v_fma_f64 v[72:73], v[80:81], s[2:3], v[70:71]
	v_add_f64 v[70:71], v[74:75], v[108:109]
	v_add_f64 v[68:69], v[68:69], v[108:109]
	v_add_f64 v[108:109], v[74:75], -v[108:109]
	v_add_f64 v[80:81], v[78:79], -v[74:75]
	;; [unrolled: 1-line block ×3, first 2 shown]
	v_fma_f64 v[4:5], v[70:71], -0.5, v[4:5]
	v_add_f64 v[114:115], v[80:81], v[114:115]
	v_fma_f64 v[70:71], v[112:113], s[14:15], v[4:5]
	v_fma_f64 v[4:5], v[112:113], s[6:7], v[4:5]
	v_add_f64 v[112:113], v[104:105], -v[102:103]
	v_fma_f64 v[70:71], v[110:111], s[8:9], v[70:71]
	v_fma_f64 v[4:5], v[110:111], s[4:5], v[4:5]
	v_add_f64 v[110:111], v[100:101], v[102:103]
	v_add_f64 v[112:113], v[78:79], v[112:113]
	v_fma_f64 v[80:81], v[114:115], s[2:3], v[70:71]
	v_add_f64 v[70:71], v[6:7], v[82:83]
	v_fma_f64 v[110:111], v[110:111], -0.5, v[6:7]
	v_fma_f64 v[4:5], v[114:115], s[2:3], v[4:5]
	v_add_f64 v[114:115], v[130:131], -v[98:99]
	v_add_f64 v[70:71], v[70:71], v[100:101]
	v_fma_f64 v[74:75], v[108:109], s[14:15], v[110:111]
	v_add_f64 v[70:71], v[70:71], v[102:103]
	v_fma_f64 v[74:75], v[106:107], s[4:5], v[74:75]
	;; [unrolled: 2-line block ×3, first 2 shown]
	v_fma_f64 v[74:75], v[108:109], s[6:7], v[110:111]
	v_add_f64 v[110:111], v[82:83], v[104:105]
	v_add_f64 v[82:83], v[100:101], -v[82:83]
	v_add_f64 v[100:101], v[102:103], -v[104:105]
	v_add_f64 v[102:103], v[94:95], v[130:131]
	v_fma_f64 v[74:75], v[106:107], s[8:9], v[74:75]
	v_fma_f64 v[6:7], v[110:111], -0.5, v[6:7]
	v_add_f64 v[100:101], v[82:83], v[100:101]
	v_fma_f64 v[102:103], v[102:103], -0.5, v[0:1]
	v_fma_f64 v[74:75], v[112:113], s[2:3], v[74:75]
	v_fma_f64 v[110:111], v[106:107], s[6:7], v[6:7]
	v_fma_f64 v[6:7], v[106:107], s[14:15], v[6:7]
	v_add_f64 v[106:107], v[84:85], -v[90:91]
	v_add_f64 v[112:113], v[98:99], -v[130:131]
	v_fma_f64 v[110:111], v[108:109], s[4:5], v[110:111]
	v_fma_f64 v[6:7], v[108:109], s[8:9], v[6:7]
	v_fma_f64 v[104:105], v[106:107], s[6:7], v[102:103]
	v_add_f64 v[108:109], v[92:93], -v[94:95]
	v_fma_f64 v[102:103], v[106:107], s[14:15], v[102:103]
	v_fma_f64 v[82:83], v[100:101], s[2:3], v[110:111]
	v_add_f64 v[110:111], v[86:87], -v[88:89]
	v_fma_f64 v[6:7], v[100:101], s[2:3], v[6:7]
	v_add_f64 v[108:109], v[108:109], v[112:113]
	v_add_f64 v[100:101], v[0:1], v[92:93]
	v_add_f64 v[112:113], v[94:95], -v[92:93]
	ds_write_b128 v8, v[68:71] offset:30000
	ds_write_b128 v8, v[76:79] offset:32000
	;; [unrolled: 1-line block ×5, first 2 shown]
	v_lshlrev_b32_sdwa v4, v172, v173 dst_sel:DWORD dst_unused:UNUSED_PAD src0_sel:DWORD src1_sel:WORD_0
	v_fma_f64 v[104:105], v[110:111], s[8:9], v[104:105]
	v_fma_f64 v[102:103], v[110:111], s[4:5], v[102:103]
	v_add_f64 v[100:101], v[100:101], v[94:95]
	v_add_f64 v[112:113], v[112:113], v[114:115]
	v_add_f64 v[94:95], v[94:95], -v[130:131]
	v_add_f64 v[114:115], v[90:91], -v[88:89]
	buffer_store_dword v4, off, s[20:23], 0 offset:728 ; 4-byte Folded Spill
	v_fma_f64 v[104:105], v[108:109], s[2:3], v[104:105]
	v_fma_f64 v[108:109], v[108:109], s[2:3], v[102:103]
	v_add_f64 v[102:103], v[92:93], v[98:99]
	v_add_f64 v[100:101], v[100:101], v[130:131]
	v_add_f64 v[92:93], v[92:93], -v[98:99]
	v_fma_f64 v[102:103], v[102:103], -0.5, v[0:1]
	v_add_f64 v[100:101], v[100:101], v[98:99]
	v_fma_f64 v[0:1], v[110:111], s[14:15], v[102:103]
	v_fma_f64 v[102:103], v[110:111], s[6:7], v[102:103]
	;; [unrolled: 1-line block ×4, first 2 shown]
	v_add_f64 v[106:107], v[86:87], v[88:89]
	v_fma_f64 v[0:1], v[112:113], s[2:3], v[0:1]
	v_fma_f64 v[112:113], v[112:113], s[2:3], v[102:103]
	v_fma_f64 v[110:111], v[106:107], -0.5, v[2:3]
	v_add_f64 v[106:107], v[84:85], -v[86:87]
	v_add_f64 v[102:103], v[2:3], v[84:85]
	v_fma_f64 v[98:99], v[92:93], s[14:15], v[110:111]
	v_add_f64 v[114:115], v[106:107], v[114:115]
	v_add_f64 v[102:103], v[102:103], v[86:87]
	v_fma_f64 v[98:99], v[94:95], s[4:5], v[98:99]
	v_add_f64 v[102:103], v[102:103], v[88:89]
	v_fma_f64 v[106:107], v[114:115], s[2:3], v[98:99]
	v_fma_f64 v[98:99], v[92:93], s[6:7], v[110:111]
	v_add_f64 v[102:103], v[102:103], v[90:91]
	v_fma_f64 v[98:99], v[94:95], s[8:9], v[98:99]
	v_fma_f64 v[110:111], v[114:115], s[2:3], v[98:99]
	v_add_f64 v[98:99], v[84:85], v[90:91]
	v_add_f64 v[84:85], v[86:87], -v[84:85]
	v_add_f64 v[86:87], v[88:89], -v[90:91]
	v_fma_f64 v[98:99], v[98:99], -0.5, v[2:3]
	v_add_f64 v[84:85], v[84:85], v[86:87]
	v_fma_f64 v[2:3], v[94:95], s[6:7], v[98:99]
	v_fma_f64 v[86:87], v[94:95], s[14:15], v[98:99]
	;; [unrolled: 1-line block ×6, first 2 shown]
	ds_write_b128 v4, v[100:103] offset:40000
	ds_write_b128 v4, v[104:107] offset:42000
	;; [unrolled: 1-line block ×5, first 2 shown]
	v_add_co_u32 v4, vcc_lo, 0x26c0, v119
	v_add_co_ci_u32_e32 v5, vcc_lo, 0, v132, vcc_lo
	v_add_co_u32 v10, vcc_lo, 0x2000, v119
	v_add_co_ci_u32_e32 v11, vcc_lo, 0, v132, vcc_lo
	s_waitcnt lgkmcnt(0)
	s_waitcnt_vscnt null, 0x0
	s_barrier
	buffer_gl0_inv
	ds_read_b128 v[12:15], v118
	ds_read_b128 v[0:3], v118 offset:10000
	ds_read_b128 v[6:9], v118 offset:20000
	;; [unrolled: 1-line block ×24, first 2 shown]
	s_clause 0x3
	global_load_dwordx4 v[127:130], v[10:11], off offset:1728
	global_load_dwordx4 v[114:117], v[4:5], off offset:48
	;; [unrolled: 1-line block ×4, first 2 shown]
	s_waitcnt vmcnt(3) lgkmcnt(23)
	v_mul_f64 v[4:5], v[2:3], v[129:130]
	v_fma_f64 v[121:122], v[0:1], v[127:128], -v[4:5]
	buffer_store_dword v127, off, s[20:23], 0 offset:920 ; 4-byte Folded Spill
	buffer_store_dword v128, off, s[20:23], 0 offset:924 ; 4-byte Folded Spill
	;; [unrolled: 1-line block ×4, first 2 shown]
	v_mul_f64 v[0:1], v[0:1], v[129:130]
	v_fma_f64 v[10:11], v[2:3], v[127:128], v[0:1]
	s_waitcnt vmcnt(0)
	v_mov_b32_e32 v2, v123
	v_mov_b32_e32 v3, v124
	;; [unrolled: 1-line block ×4, first 2 shown]
	buffer_store_dword v2, off, s[20:23], 0 offset:952 ; 4-byte Folded Spill
	buffer_store_dword v3, off, s[20:23], 0 offset:956 ; 4-byte Folded Spill
	;; [unrolled: 1-line block ×12, first 2 shown]
	s_waitcnt lgkmcnt(22)
	v_mul_f64 v[0:1], v[8:9], v[4:5]
	v_fma_f64 v[125:126], v[6:7], v[2:3], -v[0:1]
	v_mul_f64 v[0:1], v[6:7], v[4:5]
	v_fma_f64 v[4:5], v[8:9], v[2:3], v[0:1]
	s_waitcnt lgkmcnt(21)
	v_mul_f64 v[2:3], v[78:79], v[90:91]
	v_fma_f64 v[129:130], v[76:77], v[88:89], -v[2:3]
	v_mul_f64 v[2:3], v[76:77], v[90:91]
	v_fma_f64 v[90:91], v[78:79], v[88:89], v[2:3]
	;; [unrolled: 5-line block ×3, first 2 shown]
	v_lshlrev_b32_e32 v2, 6, v164
	v_add_co_u32 v6, s16, s10, v2
	v_add_co_ci_u32_e64 v7, null, s11, 0, s16
	v_add_co_u32 v2, vcc_lo, 0x26c0, v6
	v_add_co_ci_u32_e32 v3, vcc_lo, 0, v7, vcc_lo
	v_add_co_u32 v6, vcc_lo, 0x2000, v6
	v_add_co_ci_u32_e32 v7, vcc_lo, 0, v7, vcc_lo
	s_clause 0x3
	global_load_dwordx4 v[176:179], v[6:7], off offset:1728
	global_load_dwordx4 v[78:81], v[2:3], off offset:48
	;; [unrolled: 1-line block ×4, first 2 shown]
	s_waitcnt vmcnt(3)
	buffer_store_dword v176, off, s[20:23], 0 offset:1148 ; 4-byte Folded Spill
	buffer_store_dword v177, off, s[20:23], 0 offset:1152 ; 4-byte Folded Spill
	;; [unrolled: 1-line block ×4, first 2 shown]
	s_waitcnt vmcnt(0)
	buffer_store_dword v172, off, s[20:23], 0 offset:1116 ; 4-byte Folded Spill
	buffer_store_dword v173, off, s[20:23], 0 offset:1120 ; 4-byte Folded Spill
	;; [unrolled: 1-line block ×8, first 2 shown]
	s_waitcnt lgkmcnt(18)
	v_mul_f64 v[2:3], v[94:95], v[178:179]
	v_fma_f64 v[8:9], v[92:93], v[176:177], -v[2:3]
	v_mul_f64 v[2:3], v[92:93], v[178:179]
	v_fma_f64 v[76:77], v[94:95], v[176:177], v[2:3]
	s_waitcnt lgkmcnt(17)
	v_mul_f64 v[2:3], v[106:107], v[174:175]
	v_fma_f64 v[6:7], v[104:105], v[172:173], -v[2:3]
	v_mul_f64 v[2:3], v[104:105], v[174:175]
	v_fma_f64 v[114:115], v[106:107], v[172:173], v[2:3]
	s_waitcnt lgkmcnt(16)
	v_mul_f64 v[2:3], v[74:75], v[133:134]
	v_fma_f64 v[88:89], v[72:73], v[131:132], -v[2:3]
	v_mul_f64 v[2:3], v[72:73], v[133:134]
	v_fma_f64 v[72:73], v[74:75], v[131:132], v[2:3]
	s_waitcnt lgkmcnt(15)
	v_mul_f64 v[2:3], v[70:71], v[80:81]
	v_fma_f64 v[2:3], v[68:69], v[78:79], -v[2:3]
	buffer_store_dword v78, off, s[20:23], 0 offset:1036 ; 4-byte Folded Spill
	buffer_store_dword v79, off, s[20:23], 0 offset:1040 ; 4-byte Folded Spill
	;; [unrolled: 1-line block ×4, first 2 shown]
	v_mul_f64 v[68:69], v[68:69], v[80:81]
	v_fma_f64 v[68:69], v[70:71], v[78:79], v[68:69]
	v_lshlrev_b32_e32 v70, 6, v165
	v_add_co_u32 v74, s16, s10, v70
	v_add_co_ci_u32_e64 v75, null, s11, 0, s16
	v_add_co_u32 v70, vcc_lo, 0x26c0, v74
	v_add_co_ci_u32_e32 v71, vcc_lo, 0, v75, vcc_lo
	v_add_co_u32 v74, vcc_lo, 0x2000, v74
	v_add_co_ci_u32_e32 v75, vcc_lo, 0, v75, vcc_lo
	s_clause 0x3
	global_load_dwordx4 v[236:239], v[74:75], off offset:1728
	global_load_dwordx4 v[92:95], v[70:71], off offset:48
	;; [unrolled: 1-line block ×4, first 2 shown]
	s_waitcnt vmcnt(1)
	buffer_store_dword v104, off, s[20:23], 0 offset:1180 ; 4-byte Folded Spill
	buffer_store_dword v105, off, s[20:23], 0 offset:1184 ; 4-byte Folded Spill
	buffer_store_dword v106, off, s[20:23], 0 offset:1188 ; 4-byte Folded Spill
	buffer_store_dword v107, off, s[20:23], 0 offset:1192 ; 4-byte Folded Spill
	buffer_store_dword v92, off, s[20:23], 0 offset:1164 ; 4-byte Folded Spill
	buffer_store_dword v93, off, s[20:23], 0 offset:1168 ; 4-byte Folded Spill
	buffer_store_dword v94, off, s[20:23], 0 offset:1172 ; 4-byte Folded Spill
	buffer_store_dword v95, off, s[20:23], 0 offset:1176 ; 4-byte Folded Spill
	s_waitcnt lgkmcnt(13)
	v_mul_f64 v[70:71], v[66:67], v[238:239]
	v_fma_f64 v[70:71], v[64:65], v[236:237], -v[70:71]
	v_mul_f64 v[64:65], v[64:65], v[238:239]
	v_fma_f64 v[66:67], v[66:67], v[236:237], v[64:65]
	s_waitcnt vmcnt(0) lgkmcnt(12)
	v_mul_f64 v[64:65], v[62:63], v[254:255]
	v_fma_f64 v[80:81], v[60:61], v[252:253], -v[64:65]
	v_mul_f64 v[60:61], v[60:61], v[254:255]
	v_fma_f64 v[60:61], v[62:63], v[252:253], v[60:61]
	s_waitcnt lgkmcnt(11)
	v_mul_f64 v[62:63], v[58:59], v[106:107]
	v_fma_f64 v[62:63], v[56:57], v[104:105], -v[62:63]
	v_mul_f64 v[56:57], v[56:57], v[106:107]
	v_fma_f64 v[56:57], v[58:59], v[104:105], v[56:57]
	s_waitcnt lgkmcnt(10)
	v_mul_f64 v[58:59], v[54:55], v[94:95]
	v_fma_f64 v[58:59], v[52:53], v[92:93], -v[58:59]
	v_mul_f64 v[52:53], v[52:53], v[94:95]
	v_fma_f64 v[52:53], v[54:55], v[92:93], v[52:53]
	v_lshlrev_b32_e32 v54, 6, v166
	v_add_co_u32 v64, s16, s10, v54
	v_add_co_ci_u32_e64 v65, null, s11, 0, s16
	v_add_co_u32 v54, vcc_lo, 0x26c0, v64
	v_add_co_ci_u32_e32 v55, vcc_lo, 0, v65, vcc_lo
	v_add_co_u32 v64, vcc_lo, 0x2000, v64
	v_add_co_ci_u32_e32 v65, vcc_lo, 0, v65, vcc_lo
	s_clause 0x3
	global_load_dwordx4 v[204:207], v[64:65], off offset:1728
	global_load_dwordx4 v[220:223], v[54:55], off offset:48
	;; [unrolled: 1-line block ×4, first 2 shown]
	s_waitcnt vmcnt(3) lgkmcnt(8)
	v_mul_f64 v[54:55], v[50:51], v[206:207]
	v_fma_f64 v[74:75], v[48:49], v[204:205], -v[54:55]
	v_mul_f64 v[48:49], v[48:49], v[206:207]
	v_fma_f64 v[82:83], v[50:51], v[204:205], v[48:49]
	s_waitcnt vmcnt(0) lgkmcnt(7)
	v_mul_f64 v[48:49], v[46:47], v[214:215]
	v_fma_f64 v[78:79], v[44:45], v[212:213], -v[48:49]
	v_mul_f64 v[44:45], v[44:45], v[214:215]
	v_fma_f64 v[44:45], v[46:47], v[212:213], v[44:45]
	s_waitcnt lgkmcnt(6)
	v_mul_f64 v[46:47], v[42:43], v[218:219]
	v_fma_f64 v[106:107], v[40:41], v[216:217], -v[46:47]
	v_mul_f64 v[40:41], v[40:41], v[218:219]
	v_fma_f64 v[40:41], v[42:43], v[216:217], v[40:41]
	s_waitcnt lgkmcnt(5)
	v_mul_f64 v[42:43], v[38:39], v[222:223]
	v_fma_f64 v[108:109], v[36:37], v[220:221], -v[42:43]
	v_mul_f64 v[36:37], v[36:37], v[222:223]
	v_fma_f64 v[104:105], v[38:39], v[220:221], v[36:37]
	v_lshlrev_b32_e32 v36, 6, v167
	v_add_co_u32 v38, s10, s10, v36
	v_add_co_ci_u32_e64 v39, null, s11, 0, s10
	v_add_co_u32 v36, vcc_lo, 0x26c0, v38
	v_add_co_ci_u32_e32 v37, vcc_lo, 0, v39, vcc_lo
	v_add_co_u32 v38, vcc_lo, 0x2000, v38
	v_add_co_ci_u32_e32 v39, vcc_lo, 0, v39, vcc_lo
	s_clause 0x3
	global_load_dwordx4 v[164:167], v[38:39], off offset:1728
	global_load_dwordx4 v[180:183], v[36:37], off offset:48
	;; [unrolled: 1-line block ×4, first 2 shown]
	s_waitcnt vmcnt(3) lgkmcnt(3)
	v_mul_f64 v[36:37], v[30:31], v[166:167]
	v_fma_f64 v[92:93], v[28:29], v[164:165], -v[36:37]
	v_mul_f64 v[28:29], v[28:29], v[166:167]
	v_fma_f64 v[30:31], v[30:31], v[164:165], v[28:29]
	s_waitcnt vmcnt(0) lgkmcnt(2)
	v_mul_f64 v[28:29], v[26:27], v[174:175]
	v_fma_f64 v[94:95], v[24:25], v[172:173], -v[28:29]
	v_mul_f64 v[24:25], v[24:25], v[174:175]
	v_add_f64 v[28:29], v[0:1], -v[129:130]
	v_fma_f64 v[24:25], v[26:27], v[172:173], v[24:25]
	s_waitcnt lgkmcnt(1)
	v_mul_f64 v[26:27], v[22:23], v[178:179]
	v_fma_f64 v[46:47], v[20:21], v[176:177], -v[26:27]
	v_mul_f64 v[20:21], v[20:21], v[178:179]
	v_add_f64 v[26:27], v[121:122], -v[125:126]
	v_fma_f64 v[54:55], v[22:23], v[176:177], v[20:21]
	s_waitcnt lgkmcnt(0)
	v_mul_f64 v[20:21], v[18:19], v[182:183]
	v_add_f64 v[22:23], v[4:5], -v[90:91]
	v_add_f64 v[26:27], v[26:27], v[28:29]
	v_fma_f64 v[98:99], v[16:17], v[180:181], -v[20:21]
	v_mul_f64 v[16:17], v[16:17], v[182:183]
	v_fma_f64 v[42:43], v[18:19], v[180:181], v[16:17]
	v_add_f64 v[16:17], v[12:13], v[121:122]
	v_add_f64 v[18:19], v[10:11], -v[116:117]
	v_add_f64 v[16:17], v[16:17], v[125:126]
	v_add_f64 v[16:17], v[16:17], v[129:130]
	v_add_f64 v[131:132], v[16:17], v[0:1]
	v_add_f64 v[16:17], v[125:126], v[129:130]
	v_fma_f64 v[16:17], v[16:17], -0.5, v[12:13]
	v_fma_f64 v[20:21], v[18:19], s[6:7], v[16:17]
	v_fma_f64 v[16:17], v[18:19], s[14:15], v[16:17]
	;; [unrolled: 1-line block ×6, first 2 shown]
	v_add_f64 v[16:17], v[121:122], v[0:1]
	v_add_f64 v[20:21], v[125:126], -v[121:122]
	v_add_f64 v[26:27], v[129:130], -v[0:1]
	;; [unrolled: 1-line block ×3, first 2 shown]
	v_fma_f64 v[12:13], v[16:17], -0.5, v[12:13]
	v_add_f64 v[20:21], v[20:21], v[26:27]
	v_fma_f64 v[16:17], v[22:23], s[14:15], v[12:13]
	v_fma_f64 v[12:13], v[22:23], s[6:7], v[12:13]
	v_add_f64 v[22:23], v[116:117], -v[90:91]
	v_fma_f64 v[16:17], v[18:19], s[8:9], v[16:17]
	v_fma_f64 v[12:13], v[18:19], s[4:5], v[12:13]
	v_add_f64 v[18:19], v[125:126], -v[129:130]
	v_fma_f64 v[26:27], v[20:21], s[2:3], v[16:17]
	v_fma_f64 v[119:120], v[20:21], s[2:3], v[12:13]
	v_add_f64 v[12:13], v[14:15], v[10:11]
	v_add_f64 v[20:21], v[10:11], -v[4:5]
	v_add_f64 v[12:13], v[12:13], v[4:5]
	v_add_f64 v[20:21], v[20:21], v[22:23]
	;; [unrolled: 1-line block ×5, first 2 shown]
	v_add_f64 v[4:5], v[4:5], -v[10:11]
	v_fma_f64 v[12:13], v[12:13], -0.5, v[14:15]
	v_fma_f64 v[16:17], v[0:1], s[14:15], v[12:13]
	v_fma_f64 v[12:13], v[0:1], s[6:7], v[12:13]
	;; [unrolled: 1-line block ×6, first 2 shown]
	v_add_f64 v[12:13], v[10:11], v[116:117]
	v_add_f64 v[10:11], v[90:91], -v[116:117]
	v_add_f64 v[16:17], v[2:3], -v[88:89]
	;; [unrolled: 1-line block ×3, first 2 shown]
	v_fma_f64 v[12:13], v[12:13], -0.5, v[14:15]
	v_add_f64 v[4:5], v[4:5], v[10:11]
	v_fma_f64 v[14:15], v[18:19], s[6:7], v[12:13]
	v_fma_f64 v[10:11], v[18:19], s[14:15], v[12:13]
	v_add_f64 v[12:13], v[114:115], -v[72:73]
	v_add_f64 v[18:19], v[88:89], -v[2:3]
	v_fma_f64 v[14:15], v[0:1], s[4:5], v[14:15]
	v_fma_f64 v[0:1], v[0:1], s[8:9], v[10:11]
	;; [unrolled: 1-line block ×4, first 2 shown]
	v_add_f64 v[0:1], v[32:33], v[8:9]
	v_add_f64 v[4:5], v[76:77], -v[68:69]
	v_add_f64 v[14:15], v[8:9], -v[6:7]
	v_add_f64 v[0:1], v[0:1], v[6:7]
	v_add_f64 v[14:15], v[14:15], v[16:17]
	;; [unrolled: 1-line block ×5, first 2 shown]
	v_fma_f64 v[0:1], v[0:1], -0.5, v[32:33]
	v_fma_f64 v[10:11], v[4:5], s[6:7], v[0:1]
	v_fma_f64 v[0:1], v[4:5], s[14:15], v[0:1]
	;; [unrolled: 1-line block ×6, first 2 shown]
	v_add_f64 v[0:1], v[8:9], v[2:3]
	v_add_f64 v[14:15], v[6:7], -v[8:9]
	v_add_f64 v[2:3], v[8:9], -v[2:3]
	;; [unrolled: 1-line block ×4, first 2 shown]
	v_fma_f64 v[0:1], v[0:1], -0.5, v[32:33]
	v_add_f64 v[14:15], v[14:15], v[18:19]
	v_fma_f64 v[10:11], v[12:13], s[14:15], v[0:1]
	v_fma_f64 v[0:1], v[12:13], s[6:7], v[0:1]
	;; [unrolled: 1-line block ×6, first 2 shown]
	v_add_f64 v[0:1], v[34:35], v[76:77]
	v_add_f64 v[10:11], v[68:69], -v[72:73]
	v_add_f64 v[14:15], v[62:63], -v[58:59]
	v_add_f64 v[0:1], v[0:1], v[114:115]
	v_add_f64 v[8:9], v[8:9], v[10:11]
	v_add_f64 v[10:11], v[72:73], -v[68:69]
	v_add_f64 v[0:1], v[0:1], v[72:73]
	v_add_f64 v[38:39], v[0:1], v[68:69]
	v_add_f64 v[0:1], v[114:115], v[72:73]
	v_fma_f64 v[0:1], v[0:1], -0.5, v[34:35]
	v_fma_f64 v[4:5], v[2:3], s[14:15], v[0:1]
	v_fma_f64 v[0:1], v[2:3], s[6:7], v[0:1]
	;; [unrolled: 1-line block ×6, first 2 shown]
	v_add_f64 v[0:1], v[76:77], v[68:69]
	v_add_f64 v[8:9], v[114:115], -v[76:77]
	v_fma_f64 v[0:1], v[0:1], -0.5, v[34:35]
	v_add_f64 v[8:9], v[8:9], v[10:11]
	v_add_f64 v[10:11], v[58:59], -v[62:63]
	v_fma_f64 v[4:5], v[6:7], s[6:7], v[0:1]
	v_fma_f64 v[0:1], v[6:7], s[14:15], v[0:1]
	v_add_f64 v[6:7], v[60:61], -v[56:57]
	v_fma_f64 v[4:5], v[2:3], s[4:5], v[4:5]
	v_fma_f64 v[0:1], v[2:3], s[8:9], v[0:1]
	;; [unrolled: 3-line block ×3, first 2 shown]
	v_add_f64 v[0:1], v[110:111], v[70:71]
	v_add_f64 v[8:9], v[70:71], -v[80:81]
	v_add_f64 v[0:1], v[0:1], v[80:81]
	v_add_f64 v[10:11], v[8:9], v[10:11]
	;; [unrolled: 1-line block ×5, first 2 shown]
	v_fma_f64 v[0:1], v[0:1], -0.5, v[110:111]
	v_fma_f64 v[4:5], v[2:3], s[6:7], v[0:1]
	v_fma_f64 v[0:1], v[2:3], s[14:15], v[0:1]
	;; [unrolled: 1-line block ×6, first 2 shown]
	v_add_f64 v[0:1], v[70:71], v[58:59]
	v_add_f64 v[10:11], v[80:81], -v[70:71]
	v_fma_f64 v[0:1], v[0:1], -0.5, v[110:111]
	v_add_f64 v[10:11], v[10:11], v[14:15]
	v_fma_f64 v[4:5], v[6:7], s[14:15], v[0:1]
	v_fma_f64 v[0:1], v[6:7], s[6:7], v[0:1]
	;; [unrolled: 1-line block ×4, first 2 shown]
	v_add_f64 v[2:3], v[112:113], v[66:67]
	v_fma_f64 v[64:65], v[10:11], s[2:3], v[4:5]
	v_add_f64 v[4:5], v[70:71], -v[58:59]
	v_add_f64 v[2:3], v[2:3], v[60:61]
	v_fma_f64 v[0:1], v[10:11], s[2:3], v[0:1]
	v_add_f64 v[58:59], v[80:81], -v[62:63]
	v_add_f64 v[10:11], v[66:67], -v[60:61]
	;; [unrolled: 1-line block ×3, first 2 shown]
	v_add_f64 v[2:3], v[2:3], v[56:57]
	v_add_f64 v[62:63], v[10:11], v[62:63]
	;; [unrolled: 1-line block ×4, first 2 shown]
	v_add_f64 v[60:61], v[60:61], -v[66:67]
	v_fma_f64 v[2:3], v[2:3], -0.5, v[112:113]
	v_fma_f64 v[6:7], v[4:5], s[14:15], v[2:3]
	v_fma_f64 v[2:3], v[4:5], s[6:7], v[2:3]
	;; [unrolled: 1-line block ×6, first 2 shown]
	v_add_f64 v[2:3], v[66:67], v[52:53]
	v_add_f64 v[52:53], v[56:57], -v[52:53]
	v_add_f64 v[56:57], v[44:45], -v[40:41]
	;; [unrolled: 1-line block ×3, first 2 shown]
	v_fma_f64 v[2:3], v[2:3], -0.5, v[112:113]
	v_add_f64 v[52:53], v[60:61], v[52:53]
	v_add_f64 v[60:61], v[108:109], -v[106:107]
	v_fma_f64 v[6:7], v[58:59], s[6:7], v[2:3]
	v_fma_f64 v[2:3], v[58:59], s[14:15], v[2:3]
	v_add_f64 v[58:59], v[74:75], -v[78:79]
	v_fma_f64 v[6:7], v[4:5], s[4:5], v[6:7]
	v_fma_f64 v[2:3], v[4:5], s[8:9], v[2:3]
	v_add_f64 v[4:5], v[100:101], v[74:75]
	v_add_f64 v[58:59], v[58:59], v[60:61]
	v_add_f64 v[60:61], v[106:107], -v[108:109]
	v_fma_f64 v[66:67], v[52:53], s[2:3], v[6:7]
	v_add_f64 v[6:7], v[82:83], -v[104:105]
	v_add_f64 v[4:5], v[4:5], v[78:79]
	v_fma_f64 v[2:3], v[52:53], s[2:3], v[2:3]
	v_add_f64 v[4:5], v[4:5], v[106:107]
	v_add_f64 v[68:69], v[4:5], v[108:109]
	;; [unrolled: 1-line block ×3, first 2 shown]
	v_fma_f64 v[4:5], v[4:5], -0.5, v[100:101]
	v_fma_f64 v[52:53], v[6:7], s[6:7], v[4:5]
	v_fma_f64 v[4:5], v[6:7], s[14:15], v[4:5]
	;; [unrolled: 1-line block ×6, first 2 shown]
	v_add_f64 v[4:5], v[74:75], v[108:109]
	v_add_f64 v[58:59], v[78:79], -v[74:75]
	v_fma_f64 v[4:5], v[4:5], -0.5, v[100:101]
	v_add_f64 v[58:59], v[58:59], v[60:61]
	v_add_f64 v[60:61], v[82:83], -v[44:45]
	v_fma_f64 v[52:53], v[56:57], s[14:15], v[4:5]
	v_fma_f64 v[4:5], v[56:57], s[6:7], v[4:5]
	v_add_f64 v[60:61], v[60:61], v[62:63]
	v_add_f64 v[62:63], v[98:99], -v[46:47]
	v_fma_f64 v[52:53], v[6:7], s[8:9], v[52:53]
	v_fma_f64 v[4:5], v[6:7], s[4:5], v[4:5]
	v_add_f64 v[6:7], v[102:103], v[82:83]
	v_fma_f64 v[80:81], v[58:59], s[2:3], v[52:53]
	v_add_f64 v[52:53], v[74:75], -v[108:109]
	v_add_f64 v[6:7], v[6:7], v[44:45]
	v_fma_f64 v[4:5], v[58:59], s[2:3], v[4:5]
	v_add_f64 v[58:59], v[78:79], -v[106:107]
	v_add_f64 v[6:7], v[6:7], v[40:41]
	v_add_f64 v[70:71], v[6:7], v[104:105]
	v_add_f64 v[6:7], v[44:45], v[40:41]
	v_add_f64 v[44:45], v[44:45], -v[82:83]
	v_add_f64 v[40:41], v[40:41], -v[104:105]
	v_fma_f64 v[6:7], v[6:7], -0.5, v[102:103]
	v_add_f64 v[40:41], v[44:45], v[40:41]
	v_fma_f64 v[56:57], v[52:53], s[14:15], v[6:7]
	v_fma_f64 v[6:7], v[52:53], s[6:7], v[6:7]
	;; [unrolled: 1-line block ×6, first 2 shown]
	v_add_f64 v[6:7], v[82:83], v[104:105]
	v_fma_f64 v[6:7], v[6:7], -0.5, v[102:103]
	v_fma_f64 v[56:57], v[58:59], s[6:7], v[6:7]
	v_fma_f64 v[6:7], v[58:59], s[14:15], v[6:7]
	v_add_f64 v[58:59], v[92:93], -v[94:95]
	v_fma_f64 v[56:57], v[52:53], s[4:5], v[56:57]
	v_fma_f64 v[6:7], v[52:53], s[8:9], v[6:7]
	v_add_f64 v[52:53], v[30:31], -v[42:43]
	v_add_f64 v[58:59], v[58:59], v[62:63]
	v_add_f64 v[62:63], v[94:95], -v[92:93]
	v_fma_f64 v[82:83], v[40:41], s[2:3], v[56:57]
	v_fma_f64 v[6:7], v[40:41], s[2:3], v[6:7]
	v_add_f64 v[40:41], v[84:85], v[92:93]
	v_add_f64 v[56:57], v[24:25], -v[54:55]
	v_add_f64 v[40:41], v[40:41], v[94:95]
	v_add_f64 v[40:41], v[40:41], v[46:47]
	;; [unrolled: 1-line block ×4, first 2 shown]
	v_fma_f64 v[40:41], v[40:41], -0.5, v[84:85]
	v_fma_f64 v[44:45], v[52:53], s[6:7], v[40:41]
	v_fma_f64 v[40:41], v[52:53], s[14:15], v[40:41]
	;; [unrolled: 1-line block ×6, first 2 shown]
	v_add_f64 v[40:41], v[92:93], v[98:99]
	v_fma_f64 v[58:59], v[40:41], -0.5, v[84:85]
	v_add_f64 v[84:85], v[46:47], -v[98:99]
	v_fma_f64 v[40:41], v[56:57], s[14:15], v[58:59]
	v_fma_f64 v[56:57], v[56:57], s[6:7], v[58:59]
	v_add_f64 v[62:63], v[62:63], v[84:85]
	v_add_f64 v[58:59], v[92:93], -v[98:99]
	v_add_f64 v[92:93], v[94:95], -v[46:47]
	v_fma_f64 v[40:41], v[52:53], s[8:9], v[40:41]
	v_fma_f64 v[52:53], v[52:53], s[4:5], v[56:57]
	v_add_f64 v[56:57], v[86:87], v[30:31]
	v_fma_f64 v[40:41], v[62:63], s[2:3], v[40:41]
	v_fma_f64 v[52:53], v[62:63], s[2:3], v[52:53]
	v_add_f64 v[56:57], v[56:57], v[24:25]
	v_add_f64 v[56:57], v[56:57], v[54:55]
	;; [unrolled: 1-line block ×4, first 2 shown]
	v_fma_f64 v[56:57], v[56:57], -0.5, v[86:87]
	v_fma_f64 v[84:85], v[58:59], s[14:15], v[56:57]
	v_fma_f64 v[56:57], v[58:59], s[6:7], v[56:57]
	;; [unrolled: 1-line block ×3, first 2 shown]
	v_add_f64 v[84:85], v[30:31], -v[24:25]
	v_fma_f64 v[56:57], v[92:93], s[8:9], v[56:57]
	v_add_f64 v[24:25], v[24:25], -v[30:31]
	v_add_f64 v[84:85], v[84:85], v[90:91]
	v_fma_f64 v[90:91], v[84:85], s[2:3], v[56:57]
	v_add_f64 v[56:57], v[30:31], v[42:43]
	v_add_f64 v[30:31], v[54:55], -v[42:43]
	v_fma_f64 v[46:47], v[84:85], s[2:3], v[46:47]
	v_fma_f64 v[56:57], v[56:57], -0.5, v[86:87]
	v_add_f64 v[24:25], v[24:25], v[30:31]
	v_fma_f64 v[84:85], v[92:93], s[6:7], v[56:57]
	v_fma_f64 v[30:31], v[92:93], s[14:15], v[56:57]
	;; [unrolled: 1-line block ×6, first 2 shown]
	ds_write_b128 v118, v[131:134]
	ds_write_b128 v118, v[123:126] offset:10000
	ds_write_b128 v118, v[26:29] offset:20000
	ds_write_b128 v118, v[119:122] offset:30000
	ds_write_b128 v118, v[127:130] offset:40000
	ds_write_b128 v118, v[36:39] offset:2000
	ds_write_b128 v118, v[16:19] offset:12000
	ds_write_b128 v118, v[48:51] offset:22000
	ds_write_b128 v118, v[32:35] offset:32000
	ds_write_b128 v118, v[20:23] offset:42000
	ds_write_b128 v118, v[12:15] offset:4000
	ds_write_b128 v118, v[8:11] offset:14000
	ds_write_b128 v118, v[64:67] offset:24000
	ds_write_b128 v118, v[0:3] offset:34000
	ds_write_b128 v118, v[114:117] offset:44000
	ds_write_b128 v118, v[68:71] offset:6000
	ds_write_b128 v118, v[76:79] offset:16000
	ds_write_b128 v118, v[80:83] offset:26000
	ds_write_b128 v118, v[4:7] offset:36000
	ds_write_b128 v118, v[72:75] offset:46000
	ds_write_b128 v118, v[60:63] offset:8000
	ds_write_b128 v118, v[44:47] offset:18000
	ds_write_b128 v118, v[40:43] offset:28000
	ds_write_b128 v118, v[52:55] offset:38000
	ds_write_b128 v118, v[88:91] offset:48000
	v_add_co_u32 v12, vcc_lo, 0xc350, v96
	v_add_co_ci_u32_e32 v13, vcc_lo, 0, v97, vcc_lo
	v_add_co_u32 v4, vcc_lo, 0xc000, v96
	v_add_co_ci_u32_e32 v5, vcc_lo, 0, v97, vcc_lo
	s_waitcnt lgkmcnt(0)
	s_waitcnt_vscnt null, 0x0
	s_barrier
	buffer_gl0_inv
	global_load_dwordx4 v[4:7], v[4:5], off offset:848
	ds_read_b128 v[0:3], v118
	s_waitcnt vmcnt(0) lgkmcnt(0)
	v_mul_f64 v[8:9], v[2:3], v[6:7]
	v_fma_f64 v[8:9], v[0:1], v[4:5], -v[8:9]
	v_mul_f64 v[0:1], v[0:1], v[6:7]
	v_fma_f64 v[10:11], v[2:3], v[4:5], v[0:1]
	v_add_co_u32 v4, vcc_lo, 0xe800, v96
	v_add_co_ci_u32_e32 v5, vcc_lo, 0, v97, vcc_lo
	ds_read_b128 v[0:3], v118 offset:10000
	global_load_dwordx4 v[4:7], v[4:5], off offset:608
	ds_write_b128 v118, v[8:11]
	s_waitcnt vmcnt(0) lgkmcnt(1)
	v_mul_f64 v[8:9], v[2:3], v[6:7]
	v_fma_f64 v[8:9], v[0:1], v[4:5], -v[8:9]
	v_mul_f64 v[0:1], v[0:1], v[6:7]
	v_fma_f64 v[10:11], v[2:3], v[4:5], v[0:1]
	v_add_co_u32 v4, vcc_lo, 0x11000, v96
	v_add_co_ci_u32_e32 v5, vcc_lo, 0, v97, vcc_lo
	ds_read_b128 v[0:3], v118 offset:20000
	global_load_dwordx4 v[4:7], v[4:5], off offset:368
	ds_write_b128 v118, v[8:11] offset:10000
	s_waitcnt vmcnt(0) lgkmcnt(1)
	v_mul_f64 v[8:9], v[2:3], v[6:7]
	v_fma_f64 v[8:9], v[0:1], v[4:5], -v[8:9]
	v_mul_f64 v[0:1], v[0:1], v[6:7]
	v_fma_f64 v[10:11], v[2:3], v[4:5], v[0:1]
	v_add_co_u32 v4, vcc_lo, 0x13800, v96
	v_add_co_ci_u32_e32 v5, vcc_lo, 0, v97, vcc_lo
	ds_read_b128 v[0:3], v118 offset:30000
	global_load_dwordx4 v[4:7], v[4:5], off offset:128
	ds_write_b128 v118, v[8:11] offset:20000
	;; [unrolled: 10-line block ×3, first 2 shown]
	s_waitcnt vmcnt(0) lgkmcnt(1)
	v_mul_f64 v[8:9], v[2:3], v[6:7]
	v_fma_f64 v[8:9], v[0:1], v[4:5], -v[8:9]
	v_mul_f64 v[0:1], v[0:1], v[6:7]
	v_fma_f64 v[10:11], v[2:3], v[4:5], v[0:1]
	global_load_dwordx4 v[4:7], v[12:13], off offset:2000
	ds_read_b128 v[0:3], v118 offset:2000
	ds_write_b128 v118, v[8:11] offset:40000
	s_waitcnt vmcnt(0) lgkmcnt(1)
	v_mul_f64 v[8:9], v[2:3], v[6:7]
	v_fma_f64 v[8:9], v[0:1], v[4:5], -v[8:9]
	v_mul_f64 v[0:1], v[0:1], v[6:7]
	v_fma_f64 v[10:11], v[2:3], v[4:5], v[0:1]
	v_add_co_u32 v4, vcc_lo, 0xf000, v96
	v_add_co_ci_u32_e32 v5, vcc_lo, 0, v97, vcc_lo
	ds_read_b128 v[0:3], v118 offset:12000
	global_load_dwordx4 v[4:7], v[4:5], off offset:560
	ds_write_b128 v118, v[8:11] offset:2000
	s_waitcnt vmcnt(0) lgkmcnt(1)
	v_mul_f64 v[8:9], v[2:3], v[6:7]
	v_fma_f64 v[8:9], v[0:1], v[4:5], -v[8:9]
	v_mul_f64 v[0:1], v[0:1], v[6:7]
	v_fma_f64 v[10:11], v[2:3], v[4:5], v[0:1]
	v_add_co_u32 v4, vcc_lo, 0x11800, v96
	v_add_co_ci_u32_e32 v5, vcc_lo, 0, v97, vcc_lo
	ds_read_b128 v[0:3], v118 offset:22000
	global_load_dwordx4 v[4:7], v[4:5], off offset:320
	ds_write_b128 v118, v[8:11] offset:12000
	s_waitcnt vmcnt(0) lgkmcnt(1)
	v_mul_f64 v[8:9], v[2:3], v[6:7]
	v_fma_f64 v[8:9], v[0:1], v[4:5], -v[8:9]
	v_mul_f64 v[0:1], v[0:1], v[6:7]
	v_fma_f64 v[10:11], v[2:3], v[4:5], v[0:1]
	v_add_co_u32 v4, vcc_lo, 0x14000, v96
	v_add_co_ci_u32_e32 v5, vcc_lo, 0, v97, vcc_lo
	ds_read_b128 v[0:3], v118 offset:32000
	global_load_dwordx4 v[4:7], v[4:5], off offset:80
	ds_write_b128 v118, v[8:11] offset:22000
	s_waitcnt vmcnt(0) lgkmcnt(1)
	v_mul_f64 v[8:9], v[2:3], v[6:7]
	v_fma_f64 v[8:9], v[0:1], v[4:5], -v[8:9]
	v_mul_f64 v[0:1], v[0:1], v[6:7]
	v_fma_f64 v[10:11], v[2:3], v[4:5], v[0:1]
	v_add_co_u32 v4, vcc_lo, 0x16000, v96
	v_add_co_ci_u32_e32 v5, vcc_lo, 0, v97, vcc_lo
	ds_read_b128 v[0:3], v118 offset:42000
	global_load_dwordx4 v[4:7], v[4:5], off offset:1888
	ds_write_b128 v118, v[8:11] offset:32000
	s_waitcnt vmcnt(0) lgkmcnt(1)
	v_mul_f64 v[8:9], v[2:3], v[6:7]
	v_fma_f64 v[8:9], v[0:1], v[4:5], -v[8:9]
	v_mul_f64 v[0:1], v[0:1], v[6:7]
	v_fma_f64 v[10:11], v[2:3], v[4:5], v[0:1]
	v_add_co_u32 v4, vcc_lo, 0xd000, v96
	v_add_co_ci_u32_e32 v5, vcc_lo, 0, v97, vcc_lo
	ds_read_b128 v[0:3], v118 offset:4000
	global_load_dwordx4 v[4:7], v[4:5], off offset:752
	ds_write_b128 v118, v[8:11] offset:42000
	s_waitcnt vmcnt(0) lgkmcnt(1)
	v_mul_f64 v[8:9], v[2:3], v[6:7]
	v_fma_f64 v[8:9], v[0:1], v[4:5], -v[8:9]
	v_mul_f64 v[0:1], v[0:1], v[6:7]
	v_fma_f64 v[10:11], v[2:3], v[4:5], v[0:1]
	v_add_co_u32 v4, vcc_lo, 0xf800, v96
	v_add_co_ci_u32_e32 v5, vcc_lo, 0, v97, vcc_lo
	ds_read_b128 v[0:3], v118 offset:14000
	global_load_dwordx4 v[4:7], v[4:5], off offset:512
	ds_write_b128 v118, v[8:11] offset:4000
	s_waitcnt vmcnt(0) lgkmcnt(1)
	v_mul_f64 v[8:9], v[2:3], v[6:7]
	v_fma_f64 v[8:9], v[0:1], v[4:5], -v[8:9]
	v_mul_f64 v[0:1], v[0:1], v[6:7]
	v_fma_f64 v[10:11], v[2:3], v[4:5], v[0:1]
	v_add_co_u32 v4, vcc_lo, 0x12000, v96
	v_add_co_ci_u32_e32 v5, vcc_lo, 0, v97, vcc_lo
	ds_read_b128 v[0:3], v118 offset:24000
	v_add_co_u32 v12, vcc_lo, 0x14800, v96
	global_load_dwordx4 v[4:7], v[4:5], off offset:272
	v_add_co_ci_u32_e32 v13, vcc_lo, 0, v97, vcc_lo
	ds_write_b128 v118, v[8:11] offset:14000
	s_waitcnt vmcnt(0) lgkmcnt(1)
	v_mul_f64 v[8:9], v[2:3], v[6:7]
	v_fma_f64 v[8:9], v[0:1], v[4:5], -v[8:9]
	v_mul_f64 v[0:1], v[0:1], v[6:7]
	v_fma_f64 v[10:11], v[2:3], v[4:5], v[0:1]
	global_load_dwordx4 v[4:7], v[12:13], off offset:32
	ds_read_b128 v[0:3], v118 offset:34000
	ds_write_b128 v118, v[8:11] offset:24000
	s_waitcnt vmcnt(0) lgkmcnt(1)
	v_mul_f64 v[8:9], v[2:3], v[6:7]
	v_fma_f64 v[8:9], v[0:1], v[4:5], -v[8:9]
	v_mul_f64 v[0:1], v[0:1], v[6:7]
	v_fma_f64 v[10:11], v[2:3], v[4:5], v[0:1]
	v_add_co_u32 v4, vcc_lo, 0x16800, v96
	v_add_co_ci_u32_e32 v5, vcc_lo, 0, v97, vcc_lo
	ds_read_b128 v[0:3], v118 offset:44000
	global_load_dwordx4 v[4:7], v[4:5], off offset:1840
	ds_write_b128 v118, v[8:11] offset:34000
	s_waitcnt vmcnt(0) lgkmcnt(1)
	v_mul_f64 v[8:9], v[2:3], v[6:7]
	v_fma_f64 v[8:9], v[0:1], v[4:5], -v[8:9]
	v_mul_f64 v[0:1], v[0:1], v[6:7]
	v_fma_f64 v[10:11], v[2:3], v[4:5], v[0:1]
	v_add_co_u32 v4, vcc_lo, 0xd800, v96
	v_add_co_ci_u32_e32 v5, vcc_lo, 0, v97, vcc_lo
	ds_read_b128 v[0:3], v118 offset:6000
	global_load_dwordx4 v[4:7], v[4:5], off offset:704
	;; [unrolled: 10-line block ×4, first 2 shown]
	ds_write_b128 v118, v[8:11] offset:16000
	s_waitcnt vmcnt(0) lgkmcnt(1)
	v_mul_f64 v[8:9], v[2:3], v[6:7]
	v_fma_f64 v[8:9], v[0:1], v[4:5], -v[8:9]
	v_mul_f64 v[0:1], v[0:1], v[6:7]
	v_fma_f64 v[10:11], v[2:3], v[4:5], v[0:1]
	global_load_dwordx4 v[4:7], v[12:13], off offset:2032
	ds_read_b128 v[0:3], v118 offset:36000
	ds_write_b128 v118, v[8:11] offset:26000
	s_waitcnt vmcnt(0) lgkmcnt(1)
	v_mul_f64 v[8:9], v[2:3], v[6:7]
	v_fma_f64 v[8:9], v[0:1], v[4:5], -v[8:9]
	v_mul_f64 v[0:1], v[0:1], v[6:7]
	v_fma_f64 v[10:11], v[2:3], v[4:5], v[0:1]
	v_add_co_u32 v4, vcc_lo, 0x17000, v96
	v_add_co_ci_u32_e32 v5, vcc_lo, 0, v97, vcc_lo
	ds_read_b128 v[0:3], v118 offset:46000
	global_load_dwordx4 v[4:7], v[4:5], off offset:1792
	ds_write_b128 v118, v[8:11] offset:36000
	s_waitcnt vmcnt(0) lgkmcnt(1)
	v_mul_f64 v[8:9], v[2:3], v[6:7]
	v_fma_f64 v[8:9], v[0:1], v[4:5], -v[8:9]
	v_mul_f64 v[0:1], v[0:1], v[6:7]
	v_fma_f64 v[10:11], v[2:3], v[4:5], v[0:1]
	v_add_co_u32 v4, vcc_lo, 0xe000, v96
	v_add_co_ci_u32_e32 v5, vcc_lo, 0, v97, vcc_lo
	ds_read_b128 v[0:3], v118 offset:8000
	global_load_dwordx4 v[4:7], v[4:5], off offset:656
	;; [unrolled: 10-line block ×6, first 2 shown]
	ds_write_b128 v118, v[8:11] offset:38000
	s_waitcnt vmcnt(0) lgkmcnt(1)
	v_mul_f64 v[8:9], v[2:3], v[6:7]
	v_fma_f64 v[8:9], v[0:1], v[4:5], -v[8:9]
	v_mul_f64 v[0:1], v[0:1], v[6:7]
	v_fma_f64 v[10:11], v[2:3], v[4:5], v[0:1]
	ds_write_b128 v118, v[8:11] offset:48000
	s_waitcnt lgkmcnt(0)
	s_barrier
	buffer_gl0_inv
	ds_read_b128 v[88:91], v118
	ds_read_b128 v[92:95], v118 offset:10000
	ds_read_b128 v[114:117], v118 offset:20000
	;; [unrolled: 1-line block ×24, first 2 shown]
	s_waitcnt lgkmcnt(23)
	v_add_f64 v[96:97], v[88:89], v[92:93]
	s_waitcnt lgkmcnt(20)
	v_add_f64 v[98:99], v[94:95], -v[86:87]
	v_add_f64 v[102:103], v[116:117], -v[82:83]
	;; [unrolled: 1-line block ×4, first 2 shown]
	s_waitcnt lgkmcnt(0)
	s_barrier
	buffer_gl0_inv
	v_add_f64 v[96:97], v[96:97], v[114:115]
	v_add_f64 v[106:107], v[104:105], v[106:107]
	;; [unrolled: 1-line block ×5, first 2 shown]
	v_fma_f64 v[96:97], v[96:97], -0.5, v[88:89]
	v_fma_f64 v[100:101], v[98:99], s[14:15], v[96:97]
	v_fma_f64 v[96:97], v[98:99], s[6:7], v[96:97]
	;; [unrolled: 1-line block ×6, first 2 shown]
	v_add_f64 v[96:97], v[92:93], v[84:85]
	v_add_f64 v[100:101], v[114:115], -v[92:93]
	v_add_f64 v[106:107], v[80:81], -v[84:85]
	;; [unrolled: 1-line block ×4, first 2 shown]
	v_fma_f64 v[88:89], v[96:97], -0.5, v[88:89]
	v_add_f64 v[100:101], v[100:101], v[106:107]
	v_fma_f64 v[96:97], v[102:103], s[6:7], v[88:89]
	v_fma_f64 v[88:89], v[102:103], s[14:15], v[88:89]
	v_add_f64 v[102:103], v[86:87], -v[82:83]
	v_fma_f64 v[96:97], v[98:99], s[4:5], v[96:97]
	v_fma_f64 v[88:89], v[98:99], s[8:9], v[88:89]
	v_add_f64 v[98:99], v[94:95], -v[116:117]
	v_fma_f64 v[96:97], v[100:101], s[2:3], v[96:97]
	v_fma_f64 v[100:101], v[100:101], s[2:3], v[88:89]
	v_add_f64 v[88:89], v[90:91], v[94:95]
	v_add_f64 v[98:99], v[98:99], v[102:103]
	;; [unrolled: 1-line block ×6, first 2 shown]
	v_add_f64 v[82:83], v[82:83], -v[86:87]
	v_fma_f64 v[88:89], v[88:89], -0.5, v[90:91]
	v_fma_f64 v[92:93], v[84:85], s[6:7], v[88:89]
	v_fma_f64 v[88:89], v[84:85], s[14:15], v[88:89]
	;; [unrolled: 1-line block ×6, first 2 shown]
	v_add_f64 v[88:89], v[94:95], v[86:87]
	v_add_f64 v[92:93], v[116:117], -v[94:95]
	v_add_f64 v[86:87], v[74:75], -v[62:63]
	;; [unrolled: 1-line block ×3, first 2 shown]
	v_fma_f64 v[88:89], v[88:89], -0.5, v[90:91]
	v_add_f64 v[82:83], v[92:93], v[82:83]
	v_add_f64 v[92:93], v[64:65], -v[60:61]
	v_fma_f64 v[90:91], v[80:81], s[14:15], v[88:89]
	v_fma_f64 v[80:81], v[80:81], s[6:7], v[88:89]
	;; [unrolled: 1-line block ×6, first 2 shown]
	v_add_f64 v[80:81], v[76:77], v[68:69]
	v_add_f64 v[82:83], v[70:71], -v[66:67]
	v_add_f64 v[90:91], v[68:69], -v[72:73]
	v_add_f64 v[80:81], v[80:81], v[72:73]
	v_add_f64 v[90:91], v[90:91], v[92:93]
	;; [unrolled: 1-line block ×5, first 2 shown]
	v_add_f64 v[60:61], v[72:73], -v[60:61]
	v_fma_f64 v[80:81], v[80:81], -0.5, v[76:77]
	v_fma_f64 v[84:85], v[82:83], s[14:15], v[80:81]
	v_fma_f64 v[80:81], v[82:83], s[6:7], v[80:81]
	;; [unrolled: 1-line block ×6, first 2 shown]
	v_add_f64 v[80:81], v[68:69], v[64:65]
	v_add_f64 v[90:91], v[72:73], -v[68:69]
	v_add_f64 v[64:65], v[68:69], -v[64:65]
	;; [unrolled: 1-line block ×3, first 2 shown]
	v_fma_f64 v[80:81], v[80:81], -0.5, v[76:77]
	v_add_f64 v[90:91], v[90:91], v[94:95]
	v_fma_f64 v[76:77], v[86:87], s[6:7], v[80:81]
	v_fma_f64 v[80:81], v[86:87], s[14:15], v[80:81]
	v_add_f64 v[86:87], v[66:67], -v[62:63]
	v_fma_f64 v[76:77], v[82:83], s[4:5], v[76:77]
	v_fma_f64 v[80:81], v[82:83], s[8:9], v[80:81]
	v_add_f64 v[82:83], v[78:79], v[70:71]
	v_add_f64 v[72:73], v[72:73], v[86:87]
	v_fma_f64 v[76:77], v[90:91], s[2:3], v[76:77]
	v_fma_f64 v[80:81], v[90:91], s[2:3], v[80:81]
	v_add_f64 v[82:83], v[82:83], v[74:75]
	v_add_f64 v[82:83], v[82:83], v[62:63]
	v_add_f64 v[90:91], v[82:83], v[66:67]
	v_add_f64 v[82:83], v[74:75], v[62:63]
	v_add_f64 v[62:63], v[62:63], -v[66:67]
	v_fma_f64 v[82:83], v[82:83], -0.5, v[78:79]
	v_fma_f64 v[68:69], v[64:65], s[6:7], v[82:83]
	v_fma_f64 v[68:69], v[60:61], s[8:9], v[68:69]
	;; [unrolled: 1-line block ×6, first 2 shown]
	v_add_f64 v[68:69], v[70:71], v[66:67]
	v_add_f64 v[70:71], v[74:75], -v[70:71]
	v_add_f64 v[66:67], v[2:3], -v[14:15]
	;; [unrolled: 1-line block ×3, first 2 shown]
	v_fma_f64 v[68:69], v[68:69], -0.5, v[78:79]
	v_add_f64 v[62:63], v[70:71], v[62:63]
	v_add_f64 v[70:71], v[4:5], -v[0:1]
	v_fma_f64 v[72:73], v[60:61], s[14:15], v[68:69]
	v_fma_f64 v[60:61], v[60:61], s[6:7], v[68:69]
	;; [unrolled: 1-line block ×6, first 2 shown]
	v_add_f64 v[60:61], v[56:57], v[4:5]
	v_add_f64 v[62:63], v[6:7], -v[10:11]
	v_add_f64 v[72:73], v[8:9], -v[12:13]
	v_add_f64 v[60:61], v[60:61], v[0:1]
	v_add_f64 v[70:71], v[70:71], v[72:73]
	;; [unrolled: 1-line block ×5, first 2 shown]
	v_fma_f64 v[60:61], v[60:61], -0.5, v[56:57]
	v_fma_f64 v[64:65], v[62:63], s[14:15], v[60:61]
	v_fma_f64 v[60:61], v[62:63], s[6:7], v[60:61]
	;; [unrolled: 1-line block ×6, first 2 shown]
	v_add_f64 v[60:61], v[4:5], v[8:9]
	v_add_f64 v[70:71], v[0:1], -v[4:5]
	v_add_f64 v[4:5], v[4:5], -v[8:9]
	;; [unrolled: 1-line block ×4, first 2 shown]
	v_fma_f64 v[60:61], v[60:61], -0.5, v[56:57]
	v_add_f64 v[70:71], v[70:71], v[74:75]
	v_fma_f64 v[56:57], v[66:67], s[6:7], v[60:61]
	v_fma_f64 v[60:61], v[66:67], s[14:15], v[60:61]
	v_add_f64 v[66:67], v[10:11], -v[14:15]
	v_fma_f64 v[56:57], v[62:63], s[4:5], v[56:57]
	v_fma_f64 v[60:61], v[62:63], s[8:9], v[60:61]
	v_add_f64 v[62:63], v[58:59], v[6:7]
	v_add_f64 v[12:13], v[12:13], v[66:67]
	v_fma_f64 v[56:57], v[70:71], s[2:3], v[56:57]
	v_fma_f64 v[60:61], v[70:71], s[2:3], v[60:61]
	v_add_f64 v[62:63], v[62:63], v[2:3]
	v_add_f64 v[62:63], v[62:63], v[14:15]
	;; [unrolled: 1-line block ×4, first 2 shown]
	v_add_f64 v[2:3], v[2:3], -v[6:7]
	v_fma_f64 v[62:63], v[62:63], -0.5, v[58:59]
	v_fma_f64 v[8:9], v[4:5], s[6:7], v[62:63]
	v_fma_f64 v[8:9], v[0:1], s[8:9], v[8:9]
	;; [unrolled: 1-line block ×6, first 2 shown]
	v_add_f64 v[8:9], v[6:7], v[10:11]
	v_add_f64 v[6:7], v[14:15], -v[10:11]
	v_add_f64 v[10:11], v[18:19], -v[30:31]
	;; [unrolled: 1-line block ×3, first 2 shown]
	v_fma_f64 v[8:9], v[8:9], -0.5, v[58:59]
	v_add_f64 v[2:3], v[2:3], v[6:7]
	v_fma_f64 v[12:13], v[0:1], s[14:15], v[8:9]
	v_fma_f64 v[0:1], v[0:1], s[6:7], v[8:9]
	v_add_f64 v[8:9], v[20:21], -v[16:17]
	v_fma_f64 v[12:13], v[4:5], s[8:9], v[12:13]
	v_fma_f64 v[0:1], v[4:5], s[4:5], v[0:1]
	;; [unrolled: 1-line block ×4, first 2 shown]
	v_add_f64 v[0:1], v[48:49], v[20:21]
	v_add_f64 v[2:3], v[22:23], -v[26:27]
	v_add_f64 v[12:13], v[24:25], -v[28:29]
	v_add_f64 v[0:1], v[0:1], v[16:17]
	v_add_f64 v[12:13], v[8:9], v[12:13]
	;; [unrolled: 1-line block ×5, first 2 shown]
	v_add_f64 v[16:17], v[16:17], -v[28:29]
	v_fma_f64 v[0:1], v[0:1], -0.5, v[48:49]
	v_fma_f64 v[6:7], v[2:3], s[14:15], v[0:1]
	v_fma_f64 v[0:1], v[2:3], s[6:7], v[0:1]
	;; [unrolled: 1-line block ×5, first 2 shown]
	v_add_f64 v[6:7], v[20:21], v[24:25]
	v_fma_f64 v[0:1], v[12:13], s[2:3], v[0:1]
	v_fma_f64 v[6:7], v[6:7], -0.5, v[48:49]
	v_add_f64 v[48:49], v[28:29], -v[24:25]
	v_add_f64 v[28:29], v[40:41], -v[44:45]
	v_fma_f64 v[12:13], v[10:11], s[6:7], v[6:7]
	v_fma_f64 v[6:7], v[10:11], s[14:15], v[6:7]
	v_add_f64 v[14:15], v[14:15], v[48:49]
	v_fma_f64 v[12:13], v[2:3], s[4:5], v[12:13]
	v_fma_f64 v[2:3], v[2:3], s[8:9], v[6:7]
	;; [unrolled: 1-line block ×4, first 2 shown]
	v_add_f64 v[2:3], v[50:51], v[22:23]
	v_add_f64 v[14:15], v[20:21], -v[24:25]
	v_add_f64 v[20:21], v[22:23], -v[18:19]
	;; [unrolled: 1-line block ×3, first 2 shown]
	v_add_f64 v[2:3], v[2:3], v[18:19]
	v_add_f64 v[20:21], v[20:21], v[24:25]
	;; [unrolled: 1-line block ×5, first 2 shown]
	v_add_f64 v[18:19], v[18:19], -v[22:23]
	v_fma_f64 v[2:3], v[2:3], -0.5, v[50:51]
	v_fma_f64 v[10:11], v[14:15], s[6:7], v[2:3]
	v_fma_f64 v[2:3], v[14:15], s[14:15], v[2:3]
	;; [unrolled: 1-line block ×6, first 2 shown]
	v_add_f64 v[20:21], v[22:23], v[26:27]
	v_add_f64 v[22:23], v[30:31], -v[26:27]
	v_add_f64 v[26:27], v[34:35], -v[46:47]
	v_add_f64 v[30:31], v[32:33], -v[36:37]
	v_fma_f64 v[20:21], v[20:21], -0.5, v[50:51]
	v_add_f64 v[18:19], v[18:19], v[22:23]
	v_fma_f64 v[24:25], v[16:17], s[14:15], v[20:21]
	v_fma_f64 v[16:17], v[16:17], s[6:7], v[20:21]
	;; [unrolled: 1-line block ×4, first 2 shown]
	v_add_f64 v[16:17], v[52:53], v[36:37]
	v_fma_f64 v[50:51], v[18:19], s[2:3], v[24:25]
	v_fma_f64 v[14:15], v[18:19], s[2:3], v[14:15]
	v_add_f64 v[16:17], v[16:17], v[32:33]
	v_add_f64 v[18:19], v[38:39], -v[42:43]
	v_add_f64 v[24:25], v[36:37], -v[32:33]
	v_add_f64 v[16:17], v[16:17], v[44:45]
	v_add_f64 v[28:29], v[24:25], v[28:29]
	v_add_f64 v[20:21], v[16:17], v[40:41]
	v_add_f64 v[16:17], v[32:33], v[44:45]
	v_add_f64 v[32:33], v[32:33], -v[44:45]
	v_fma_f64 v[16:17], v[16:17], -0.5, v[52:53]
	v_fma_f64 v[22:23], v[18:19], s[14:15], v[16:17]
	v_fma_f64 v[16:17], v[18:19], s[6:7], v[16:17]
	;; [unrolled: 1-line block ×5, first 2 shown]
	v_add_f64 v[22:23], v[36:37], v[40:41]
	v_fma_f64 v[16:17], v[28:29], s[2:3], v[16:17]
	v_fma_f64 v[22:23], v[22:23], -0.5, v[52:53]
	v_add_f64 v[52:53], v[44:45], -v[40:41]
	v_fma_f64 v[28:29], v[26:27], s[6:7], v[22:23]
	v_fma_f64 v[22:23], v[26:27], s[14:15], v[22:23]
	v_add_f64 v[30:31], v[30:31], v[52:53]
	v_fma_f64 v[28:29], v[18:19], s[4:5], v[28:29]
	v_fma_f64 v[18:19], v[18:19], s[8:9], v[22:23]
	;; [unrolled: 1-line block ×4, first 2 shown]
	v_add_f64 v[18:19], v[54:55], v[38:39]
	v_add_f64 v[30:31], v[36:37], -v[40:41]
	v_add_f64 v[36:37], v[38:39], -v[34:35]
	;; [unrolled: 1-line block ×3, first 2 shown]
	v_add_f64 v[18:19], v[18:19], v[34:35]
	v_add_f64 v[36:37], v[36:37], v[40:41]
	;; [unrolled: 1-line block ×5, first 2 shown]
	v_add_f64 v[34:35], v[34:35], -v[38:39]
	v_fma_f64 v[18:19], v[18:19], -0.5, v[54:55]
	v_fma_f64 v[26:27], v[30:31], s[6:7], v[18:19]
	v_fma_f64 v[18:19], v[30:31], s[14:15], v[18:19]
	;; [unrolled: 1-line block ×6, first 2 shown]
	v_add_f64 v[36:37], v[38:39], v[42:43]
	v_add_f64 v[38:39], v[46:47], -v[42:43]
	v_fma_f64 v[36:37], v[36:37], -0.5, v[54:55]
	v_add_f64 v[34:35], v[34:35], v[38:39]
	v_fma_f64 v[40:41], v[32:33], s[14:15], v[36:37]
	v_fma_f64 v[32:33], v[32:33], s[6:7], v[36:37]
	;; [unrolled: 1-line block ×4, first 2 shown]
	buffer_load_dword v32, off, s[20:23], 0 offset:628 ; 4-byte Folded Reload
	s_waitcnt vmcnt(0)
	ds_write_b128 v32, v[108:111]
	ds_write_b128 v32, v[104:107] offset:16
	ds_write_b128 v32, v[96:99] offset:32
	ds_write_b128 v32, v[100:103] offset:48
	ds_write_b128 v32, v[112:115] offset:64
	buffer_load_dword v32, off, s[20:23], 0 offset:560 ; 4-byte Folded Reload
	s_waitcnt vmcnt(0)
	ds_write_b128 v32, v[88:91]
	ds_write_b128 v32, v[84:87] offset:16
	ds_write_b128 v32, v[76:79] offset:32
	ds_write_b128 v32, v[80:83] offset:48
	ds_write_b128 v32, v[92:95] offset:64
	;; [unrolled: 7-line block ×4, first 2 shown]
	buffer_load_dword v0, off, s[20:23], 0 offset:412 ; 4-byte Folded Reload
	v_fma_f64 v[54:55], v[34:35], s[2:3], v[40:41]
	v_fma_f64 v[30:31], v[34:35], s[2:3], v[30:31]
	s_waitcnt vmcnt(0)
	ds_write_b128 v0, v[20:23]
	ds_write_b128 v0, v[24:27] offset:16
	ds_write_b128 v0, v[52:55] offset:32
	;; [unrolled: 1-line block ×4, first 2 shown]
	s_waitcnt lgkmcnt(0)
	s_barrier
	buffer_gl0_inv
	ds_read_b128 v[4:7], v118
	ds_read_b128 v[12:15], v118 offset:10000
	ds_read_b128 v[20:23], v118 offset:20000
	;; [unrolled: 1-line block ×24, first 2 shown]
	s_clause 0x3
	buffer_load_dword v102, off, s[20:23], 0 offset:468
	buffer_load_dword v103, off, s[20:23], 0 offset:472
	buffer_load_dword v104, off, s[20:23], 0 offset:476
	buffer_load_dword v105, off, s[20:23], 0 offset:480
	s_waitcnt vmcnt(0) lgkmcnt(23)
	v_mul_f64 v[100:101], v[104:105], v[14:15]
	v_fma_f64 v[100:101], v[102:103], v[12:13], v[100:101]
	v_mul_f64 v[12:13], v[104:105], v[12:13]
	v_fma_f64 v[12:13], v[102:103], v[14:15], -v[12:13]
	s_clause 0x3
	buffer_load_dword v102, off, s[20:23], 0 offset:452
	buffer_load_dword v103, off, s[20:23], 0 offset:456
	buffer_load_dword v104, off, s[20:23], 0 offset:460
	buffer_load_dword v105, off, s[20:23], 0 offset:464
	s_waitcnt vmcnt(0) lgkmcnt(22)
	v_mul_f64 v[14:15], v[104:105], v[22:23]
	v_fma_f64 v[14:15], v[102:103], v[20:21], v[14:15]
	v_mul_f64 v[20:21], v[104:105], v[20:21]
	v_fma_f64 v[20:21], v[102:103], v[22:23], -v[20:21]
	;; [unrolled: 10-line block ×6, first 2 shown]
	s_clause 0x3
	buffer_load_dword v102, off, s[20:23], 0 offset:508
	buffer_load_dword v103, off, s[20:23], 0 offset:512
	;; [unrolled: 1-line block ×4, first 2 shown]
	s_waitcnt vmcnt(0) lgkmcnt(16)
	v_mul_f64 v[38:39], v[104:105], v[46:47]
	v_fma_f64 v[38:39], v[102:103], v[44:45], v[38:39]
	v_mul_f64 v[44:45], v[104:105], v[44:45]
	s_clause 0x3
	buffer_load_dword v104, off, s[20:23], 0 offset:492
	buffer_load_dword v105, off, s[20:23], 0 offset:496
	;; [unrolled: 1-line block ×4, first 2 shown]
	v_fma_f64 v[102:103], v[102:103], v[46:47], -v[44:45]
	s_waitcnt vmcnt(0) lgkmcnt(15)
	v_mul_f64 v[44:45], v[106:107], v[50:51]
	v_fma_f64 v[46:47], v[104:105], v[48:49], v[44:45]
	v_mul_f64 v[44:45], v[106:107], v[48:49]
	v_fma_f64 v[48:49], v[104:105], v[50:51], -v[44:45]
	s_clause 0x3
	buffer_load_dword v104, off, s[20:23], 0 offset:968
	buffer_load_dword v105, off, s[20:23], 0 offset:972
	;; [unrolled: 1-line block ×4, first 2 shown]
	s_waitcnt vmcnt(0) lgkmcnt(13)
	v_mul_f64 v[44:45], v[106:107], v[54:55]
	v_fma_f64 v[50:51], v[104:105], v[52:53], v[44:45]
	v_mul_f64 v[44:45], v[106:107], v[52:53]
	v_fma_f64 v[108:109], v[104:105], v[54:55], -v[44:45]
	s_clause 0x3
	buffer_load_dword v52, off, s[20:23], 0 offset:984
	buffer_load_dword v53, off, s[20:23], 0 offset:988
	;; [unrolled: 1-line block ×4, first 2 shown]
	s_waitcnt vmcnt(0) lgkmcnt(12)
	v_mul_f64 v[44:45], v[54:55], v[58:59]
	v_fma_f64 v[110:111], v[52:53], v[56:57], v[44:45]
	v_mul_f64 v[44:45], v[54:55], v[56:57]
	v_add_f64 v[56:57], v[20:21], -v[24:25]
	v_fma_f64 v[112:113], v[52:53], v[58:59], -v[44:45]
	s_clause 0x3
	buffer_load_dword v52, off, s[20:23], 0 offset:1020
	buffer_load_dword v53, off, s[20:23], 0 offset:1024
	;; [unrolled: 1-line block ×4, first 2 shown]
	v_add_f64 v[58:59], v[100:101], -v[14:15]
	s_waitcnt vmcnt(0) lgkmcnt(11)
	v_mul_f64 v[44:45], v[54:55], v[62:63]
	v_fma_f64 v[114:115], v[52:53], v[60:61], v[44:45]
	v_mul_f64 v[44:45], v[54:55], v[60:61]
	v_fma_f64 v[60:61], v[52:53], v[62:63], -v[44:45]
	s_clause 0x3
	buffer_load_dword v52, off, s[20:23], 0 offset:1004
	buffer_load_dword v53, off, s[20:23], 0 offset:1008
	;; [unrolled: 1-line block ×4, first 2 shown]
	s_waitcnt vmcnt(0) lgkmcnt(0)
	s_barrier
	buffer_gl0_inv
	v_mul_f64 v[44:45], v[54:55], v[66:67]
	v_fma_f64 v[62:63], v[52:53], v[64:65], v[44:45]
	v_mul_f64 v[44:45], v[54:55], v[64:65]
	v_fma_f64 v[64:65], v[52:53], v[66:67], -v[44:45]
	v_mul_f64 v[44:45], v[210:211], v[70:71]
	v_add_f64 v[52:53], v[12:13], -v[28:29]
	v_fma_f64 v[66:67], v[208:209], v[68:69], v[44:45]
	v_mul_f64 v[44:45], v[210:211], v[68:69]
	v_fma_f64 v[68:69], v[208:209], v[70:71], -v[44:45]
	v_mul_f64 v[44:45], v[230:231], v[74:75]
	v_fma_f64 v[70:71], v[228:229], v[72:73], v[44:45]
	v_mul_f64 v[44:45], v[230:231], v[72:73]
	v_fma_f64 v[72:73], v[228:229], v[74:75], -v[44:45]
	v_mul_f64 v[44:45], v[242:243], v[78:79]
	v_fma_f64 v[74:75], v[240:241], v[76:77], v[44:45]
	v_mul_f64 v[44:45], v[242:243], v[76:77]
	v_add_f64 v[76:77], v[26:27], -v[22:23]
	v_fma_f64 v[78:79], v[240:241], v[78:79], -v[44:45]
	v_mul_f64 v[44:45], v[250:251], v[82:83]
	v_add_f64 v[58:59], v[58:59], v[76:77]
	v_fma_f64 v[116:117], v[248:249], v[80:81], v[44:45]
	v_mul_f64 v[44:45], v[250:251], v[80:81]
	v_fma_f64 v[80:81], v[248:249], v[82:83], -v[44:45]
	v_mul_f64 v[44:45], v[138:139], v[86:87]
	v_fma_f64 v[82:83], v[136:137], v[84:85], v[44:45]
	v_mul_f64 v[44:45], v[138:139], v[84:85]
	v_fma_f64 v[84:85], v[136:137], v[86:87], -v[44:45]
	v_mul_f64 v[44:45], v[146:147], v[90:91]
	;; [unrolled: 4-line block ×4, first 2 shown]
	v_fma_f64 v[94:95], v[196:197], v[96:97], v[44:45]
	v_mul_f64 v[44:45], v[198:199], v[96:97]
	v_fma_f64 v[119:120], v[196:197], v[98:99], -v[44:45]
	v_add_f64 v[44:45], v[4:5], v[100:101]
	v_add_f64 v[44:45], v[44:45], v[14:15]
	;; [unrolled: 1-line block ×5, first 2 shown]
	v_fma_f64 v[44:45], v[44:45], -0.5, v[4:5]
	v_fma_f64 v[54:55], v[52:53], s[14:15], v[44:45]
	v_fma_f64 v[44:45], v[52:53], s[6:7], v[44:45]
	;; [unrolled: 1-line block ×6, first 2 shown]
	v_add_f64 v[44:45], v[100:101], v[26:27]
	v_add_f64 v[54:55], v[14:15], -v[100:101]
	v_add_f64 v[58:59], v[22:23], -v[26:27]
	v_add_f64 v[26:27], v[100:101], -v[26:27]
	v_add_f64 v[14:15], v[14:15], -v[22:23]
	v_fma_f64 v[4:5], v[44:45], -0.5, v[4:5]
	v_add_f64 v[54:55], v[54:55], v[58:59]
	v_fma_f64 v[44:45], v[56:57], s[6:7], v[4:5]
	v_fma_f64 v[4:5], v[56:57], s[14:15], v[4:5]
	;; [unrolled: 1-line block ×4, first 2 shown]
	v_add_f64 v[52:53], v[28:29], -v[24:25]
	v_fma_f64 v[128:129], v[54:55], s[2:3], v[44:45]
	v_fma_f64 v[104:105], v[54:55], s[2:3], v[4:5]
	v_add_f64 v[4:5], v[6:7], v[12:13]
	v_add_f64 v[4:5], v[4:5], v[20:21]
	;; [unrolled: 1-line block ×5, first 2 shown]
	v_fma_f64 v[4:5], v[4:5], -0.5, v[6:7]
	v_fma_f64 v[44:45], v[26:27], s[6:7], v[4:5]
	v_fma_f64 v[4:5], v[26:27], s[14:15], v[4:5]
	;; [unrolled: 1-line block ×3, first 2 shown]
	v_add_f64 v[44:45], v[12:13], -v[20:21]
	v_fma_f64 v[4:5], v[14:15], s[4:5], v[4:5]
	v_add_f64 v[44:45], v[44:45], v[52:53]
	v_fma_f64 v[138:139], v[44:45], s[2:3], v[4:5]
	v_add_f64 v[4:5], v[12:13], v[28:29]
	v_add_f64 v[12:13], v[20:21], -v[12:13]
	v_add_f64 v[20:21], v[24:25], -v[28:29]
	v_fma_f64 v[154:155], v[44:45], s[2:3], v[22:23]
	v_add_f64 v[22:23], v[46:47], -v[38:39]
	v_add_f64 v[24:25], v[48:49], -v[102:103]
	;; [unrolled: 1-line block ×3, first 2 shown]
	v_fma_f64 v[4:5], v[4:5], -0.5, v[6:7]
	v_add_f64 v[12:13], v[12:13], v[20:21]
	v_add_f64 v[20:21], v[30:31], -v[34:35]
	v_fma_f64 v[6:7], v[14:15], s[14:15], v[4:5]
	v_fma_f64 v[4:5], v[14:15], s[6:7], v[4:5]
	v_add_f64 v[14:15], v[36:37], -v[102:103]
	v_add_f64 v[20:21], v[20:21], v[22:23]
	v_add_f64 v[22:23], v[32:33], -v[36:37]
	v_fma_f64 v[6:7], v[26:27], s[8:9], v[6:7]
	v_fma_f64 v[4:5], v[26:27], s[4:5], v[4:5]
	v_add_f64 v[26:27], v[50:51], -v[110:111]
	v_add_f64 v[22:23], v[22:23], v[24:25]
	v_fma_f64 v[130:131], v[12:13], s[2:3], v[6:7]
	v_fma_f64 v[106:107], v[12:13], s[2:3], v[4:5]
	v_add_f64 v[4:5], v[0:1], v[30:31]
	v_add_f64 v[6:7], v[32:33], -v[48:49]
	v_add_f64 v[26:27], v[26:27], v[28:29]
	v_add_f64 v[28:29], v[114:115], -v[62:63]
	v_add_f64 v[4:5], v[4:5], v[34:35]
	v_add_f64 v[4:5], v[4:5], v[38:39]
	;; [unrolled: 1-line block ×4, first 2 shown]
	v_fma_f64 v[4:5], v[4:5], -0.5, v[0:1]
	v_fma_f64 v[12:13], v[6:7], s[14:15], v[4:5]
	v_fma_f64 v[4:5], v[6:7], s[6:7], v[4:5]
	;; [unrolled: 1-line block ×6, first 2 shown]
	v_add_f64 v[4:5], v[30:31], v[46:47]
	v_add_f64 v[12:13], v[34:35], -v[30:31]
	v_add_f64 v[20:21], v[38:39], -v[46:47]
	v_fma_f64 v[4:5], v[4:5], -0.5, v[0:1]
	v_add_f64 v[12:13], v[12:13], v[20:21]
	v_add_f64 v[20:21], v[34:35], -v[38:39]
	v_fma_f64 v[0:1], v[14:15], s[6:7], v[4:5]
	v_fma_f64 v[4:5], v[14:15], s[14:15], v[4:5]
	;; [unrolled: 1-line block ×4, first 2 shown]
	v_add_f64 v[6:7], v[2:3], v[32:33]
	v_fma_f64 v[0:1], v[12:13], s[2:3], v[0:1]
	v_fma_f64 v[4:5], v[12:13], s[2:3], v[4:5]
	v_add_f64 v[6:7], v[6:7], v[36:37]
	v_add_f64 v[12:13], v[30:31], -v[46:47]
	v_add_f64 v[30:31], v[64:65], -v[60:61]
	v_add_f64 v[6:7], v[6:7], v[102:103]
	v_add_f64 v[54:55], v[6:7], v[48:49]
	;; [unrolled: 1-line block ×3, first 2 shown]
	v_fma_f64 v[6:7], v[6:7], -0.5, v[2:3]
	v_fma_f64 v[14:15], v[12:13], s[6:7], v[6:7]
	v_fma_f64 v[6:7], v[12:13], s[14:15], v[6:7]
	;; [unrolled: 1-line block ×6, first 2 shown]
	v_add_f64 v[6:7], v[32:33], v[48:49]
	v_add_f64 v[14:15], v[36:37], -v[32:33]
	v_add_f64 v[22:23], v[102:103], -v[48:49]
	;; [unrolled: 1-line block ×3, first 2 shown]
	v_fma_f64 v[6:7], v[6:7], -0.5, v[2:3]
	v_add_f64 v[14:15], v[14:15], v[22:23]
	v_add_f64 v[22:23], v[112:113], -v[60:61]
	v_fma_f64 v[2:3], v[20:21], s[14:15], v[6:7]
	v_fma_f64 v[6:7], v[20:21], s[6:7], v[6:7]
	;; [unrolled: 1-line block ×4, first 2 shown]
	v_add_f64 v[12:13], v[8:9], v[50:51]
	v_fma_f64 v[2:3], v[14:15], s[2:3], v[2:3]
	v_fma_f64 v[6:7], v[14:15], s[2:3], v[6:7]
	v_add_f64 v[12:13], v[12:13], v[110:111]
	v_add_f64 v[14:15], v[108:109], -v[64:65]
	v_add_f64 v[12:13], v[12:13], v[114:115]
	v_add_f64 v[24:25], v[12:13], v[62:63]
	v_add_f64 v[12:13], v[110:111], v[114:115]
	v_fma_f64 v[12:13], v[12:13], -0.5, v[8:9]
	v_fma_f64 v[20:21], v[14:15], s[14:15], v[12:13]
	v_fma_f64 v[12:13], v[14:15], s[6:7], v[12:13]
	v_fma_f64 v[20:21], v[22:23], s[4:5], v[20:21]
	v_fma_f64 v[12:13], v[22:23], s[8:9], v[12:13]
	v_fma_f64 v[32:33], v[26:27], s[2:3], v[20:21]
	v_fma_f64 v[20:21], v[26:27], s[2:3], v[12:13]
	v_add_f64 v[12:13], v[50:51], v[62:63]
	v_add_f64 v[26:27], v[110:111], -v[50:51]
	v_fma_f64 v[8:9], v[12:13], -0.5, v[8:9]
	v_add_f64 v[26:27], v[26:27], v[28:29]
	v_add_f64 v[28:29], v[110:111], -v[114:115]
	v_fma_f64 v[12:13], v[22:23], s[6:7], v[8:9]
	v_fma_f64 v[8:9], v[22:23], s[14:15], v[8:9]
	v_add_f64 v[22:23], v[108:109], -v[112:113]
	v_fma_f64 v[12:13], v[14:15], s[4:5], v[12:13]
	v_fma_f64 v[8:9], v[14:15], s[8:9], v[8:9]
	v_add_f64 v[22:23], v[22:23], v[30:31]
	v_add_f64 v[30:31], v[60:61], -v[64:65]
	v_fma_f64 v[96:97], v[26:27], s[2:3], v[12:13]
	v_fma_f64 v[36:37], v[26:27], s[2:3], v[8:9]
	v_add_f64 v[8:9], v[10:11], v[108:109]
	v_add_f64 v[12:13], v[50:51], -v[62:63]
	v_add_f64 v[50:51], v[68:69], -v[72:73]
	;; [unrolled: 1-line block ×3, first 2 shown]
	v_add_f64 v[8:9], v[8:9], v[112:113]
	v_add_f64 v[50:51], v[50:51], v[62:63]
	;; [unrolled: 1-line block ×5, first 2 shown]
	v_fma_f64 v[8:9], v[8:9], -0.5, v[10:11]
	v_fma_f64 v[14:15], v[12:13], s[6:7], v[8:9]
	v_fma_f64 v[8:9], v[12:13], s[14:15], v[8:9]
	;; [unrolled: 1-line block ×6, first 2 shown]
	v_add_f64 v[8:9], v[108:109], v[64:65]
	v_add_f64 v[14:15], v[112:113], -v[108:109]
	v_add_f64 v[64:65], v[78:79], -v[80:81]
	v_fma_f64 v[8:9], v[8:9], -0.5, v[10:11]
	v_add_f64 v[14:15], v[14:15], v[30:31]
	v_add_f64 v[30:31], v[66:67], -v[70:71]
	v_fma_f64 v[10:11], v[28:29], s[14:15], v[8:9]
	v_fma_f64 v[8:9], v[28:29], s[6:7], v[8:9]
	v_add_f64 v[28:29], v[72:73], -v[78:79]
	v_add_f64 v[30:31], v[30:31], v[48:49]
	v_add_f64 v[48:49], v[74:75], -v[116:117]
	v_fma_f64 v[10:11], v[12:13], s[8:9], v[10:11]
	v_fma_f64 v[8:9], v[12:13], s[4:5], v[8:9]
	;; [unrolled: 1-line block ×4, first 2 shown]
	v_add_f64 v[8:9], v[16:17], v[66:67]
	v_add_f64 v[10:11], v[68:69], -v[80:81]
	v_add_f64 v[8:9], v[8:9], v[70:71]
	v_add_f64 v[8:9], v[8:9], v[74:75]
	;; [unrolled: 1-line block ×4, first 2 shown]
	v_fma_f64 v[8:9], v[8:9], -0.5, v[16:17]
	v_fma_f64 v[14:15], v[10:11], s[14:15], v[8:9]
	v_fma_f64 v[8:9], v[10:11], s[6:7], v[8:9]
	;; [unrolled: 1-line block ×5, first 2 shown]
	v_add_f64 v[14:15], v[66:67], v[116:117]
	v_fma_f64 v[8:9], v[30:31], s[2:3], v[8:9]
	v_add_f64 v[30:31], v[70:71], -v[66:67]
	v_fma_f64 v[14:15], v[14:15], -0.5, v[16:17]
	v_add_f64 v[30:31], v[30:31], v[48:49]
	v_add_f64 v[48:49], v[70:71], -v[74:75]
	v_add_f64 v[70:71], v[90:91], -v[94:95]
	;; [unrolled: 1-line block ×3, first 2 shown]
	v_fma_f64 v[16:17], v[28:29], s[6:7], v[14:15]
	v_fma_f64 v[14:15], v[28:29], s[14:15], v[14:15]
	v_add_f64 v[28:29], v[66:67], -v[116:117]
	v_add_f64 v[66:67], v[88:89], -v[92:93]
	v_fma_f64 v[16:17], v[10:11], s[4:5], v[16:17]
	v_fma_f64 v[10:11], v[10:11], s[8:9], v[14:15]
	;; [unrolled: 1-line block ×4, first 2 shown]
	v_add_f64 v[10:11], v[18:19], v[68:69]
	v_add_f64 v[10:11], v[10:11], v[72:73]
	;; [unrolled: 1-line block ×5, first 2 shown]
	v_fma_f64 v[10:11], v[10:11], -0.5, v[18:19]
	v_fma_f64 v[30:31], v[28:29], s[6:7], v[10:11]
	v_fma_f64 v[10:11], v[28:29], s[14:15], v[10:11]
	;; [unrolled: 1-line block ×5, first 2 shown]
	v_add_f64 v[30:31], v[68:69], v[80:81]
	v_fma_f64 v[10:11], v[50:51], s[2:3], v[10:11]
	v_add_f64 v[50:51], v[72:73], -v[68:69]
	v_add_f64 v[68:69], v[94:95], -v[90:91]
	;; [unrolled: 1-line block ×4, first 2 shown]
	v_fma_f64 v[18:19], v[30:31], -0.5, v[18:19]
	v_add_f64 v[50:51], v[50:51], v[64:65]
	v_fma_f64 v[30:31], v[48:49], s[14:15], v[18:19]
	v_fma_f64 v[18:19], v[48:49], s[6:7], v[18:19]
	v_add_f64 v[48:49], v[82:83], -v[86:87]
	v_fma_f64 v[30:31], v[28:29], s[8:9], v[30:31]
	v_fma_f64 v[18:19], v[28:29], s[4:5], v[18:19]
	v_add_f64 v[28:29], v[40:41], v[82:83]
	v_add_f64 v[48:49], v[48:49], v[68:69]
	v_fma_f64 v[78:79], v[50:51], s[2:3], v[30:31]
	v_fma_f64 v[18:19], v[50:51], s[2:3], v[18:19]
	v_add_f64 v[28:29], v[28:29], v[86:87]
	v_add_f64 v[50:51], v[84:85], -v[119:120]
	v_add_f64 v[28:29], v[28:29], v[90:91]
	v_add_f64 v[64:65], v[28:29], v[94:95]
	v_add_f64 v[28:29], v[86:87], v[90:91]
	v_fma_f64 v[30:31], v[28:29], -0.5, v[40:41]
	v_fma_f64 v[28:29], v[50:51], s[14:15], v[30:31]
	v_fma_f64 v[30:31], v[50:51], s[6:7], v[30:31]
	;; [unrolled: 1-line block ×6, first 2 shown]
	v_add_f64 v[30:31], v[82:83], v[94:95]
	v_add_f64 v[48:49], v[86:87], -v[82:83]
	v_add_f64 v[82:83], v[92:93], -v[119:120]
	v_fma_f64 v[30:31], v[30:31], -0.5, v[40:41]
	v_add_f64 v[70:71], v[48:49], v[70:71]
	v_fma_f64 v[40:41], v[66:67], s[6:7], v[30:31]
	v_fma_f64 v[30:31], v[66:67], s[14:15], v[30:31]
	v_fma_f64 v[40:41], v[50:51], s[4:5], v[40:41]
	v_fma_f64 v[30:31], v[50:51], s[8:9], v[30:31]
	v_fma_f64 v[48:49], v[70:71], s[2:3], v[40:41]
	v_fma_f64 v[40:41], v[70:71], s[2:3], v[30:31]
	v_add_f64 v[30:31], v[42:43], v[84:85]
	v_add_f64 v[70:71], v[84:85], -v[88:89]
	v_add_f64 v[30:31], v[30:31], v[88:89]
	v_add_f64 v[70:71], v[70:71], v[80:81]
	v_add_f64 v[80:81], v[88:89], -v[84:85]
	v_add_f64 v[30:31], v[30:31], v[92:93]
	v_add_f64 v[80:81], v[80:81], v[82:83]
	v_add_f64 v[66:67], v[30:31], v[119:120]
	v_add_f64 v[30:31], v[88:89], v[92:93]
	v_fma_f64 v[50:51], v[30:31], -0.5, v[42:43]
	v_fma_f64 v[30:31], v[72:73], s[6:7], v[50:51]
	v_fma_f64 v[50:51], v[72:73], s[14:15], v[50:51]
	;; [unrolled: 1-line block ×6, first 2 shown]
	v_add_f64 v[50:51], v[84:85], v[119:120]
	v_fma_f64 v[42:43], v[50:51], -0.5, v[42:43]
	v_fma_f64 v[50:51], v[74:75], s[14:15], v[42:43]
	v_fma_f64 v[42:43], v[74:75], s[6:7], v[42:43]
	;; [unrolled: 1-line block ×4, first 2 shown]
	buffer_load_dword v72, off, s[20:23], 0 offset:1212 ; 4-byte Folded Reload
	s_waitcnt vmcnt(0)
	ds_write_b128 v72, v[144:147]
	ds_write_b128 v72, v[152:155] offset:80
	ds_write_b128 v72, v[128:131] offset:160
	ds_write_b128 v72, v[104:107] offset:240
	ds_write_b128 v72, v[136:139] offset:320
	buffer_load_dword v72, off, s[20:23], 0 offset:1204 ; 4-byte Folded Reload
	s_waitcnt vmcnt(0)
	ds_write_b128 v72, v[52:55]
	ds_write_b128 v72, v[56:59] offset:80
	ds_write_b128 v72, v[0:3] offset:160
	ds_write_b128 v72, v[4:7] offset:240
	ds_write_b128 v72, v[44:47] offset:320
	;; [unrolled: 7-line block ×4, first 2 shown]
	buffer_load_dword v0, off, s[20:23], 0 offset:484 ; 4-byte Folded Reload
	v_fma_f64 v[50:51], v[80:81], s[2:3], v[50:51]
	v_fma_f64 v[42:43], v[80:81], s[2:3], v[42:43]
	s_waitcnt vmcnt(0)
	ds_write_b128 v0, v[64:67]
	ds_write_b128 v0, v[28:31] offset:80
	ds_write_b128 v0, v[48:51] offset:160
	;; [unrolled: 1-line block ×4, first 2 shown]
	s_waitcnt lgkmcnt(0)
	s_barrier
	buffer_gl0_inv
	ds_read_b128 v[12:15], v118
	ds_read_b128 v[16:19], v118 offset:10000
	ds_read_b128 v[20:23], v118 offset:20000
	;; [unrolled: 1-line block ×24, first 2 shown]
	s_clause 0x3
	buffer_load_dword v102, off, s[20:23], 0 offset:680
	buffer_load_dword v103, off, s[20:23], 0 offset:684
	buffer_load_dword v104, off, s[20:23], 0 offset:688
	buffer_load_dword v105, off, s[20:23], 0 offset:692
	s_waitcnt vmcnt(0) lgkmcnt(23)
	v_mul_f64 v[100:101], v[104:105], v[18:19]
	v_fma_f64 v[100:101], v[102:103], v[16:17], v[100:101]
	v_mul_f64 v[16:17], v[104:105], v[16:17]
	v_fma_f64 v[16:17], v[102:103], v[18:19], -v[16:17]
	s_clause 0x3
	buffer_load_dword v102, off, s[20:23], 0 offset:712
	buffer_load_dword v103, off, s[20:23], 0 offset:716
	buffer_load_dword v104, off, s[20:23], 0 offset:720
	buffer_load_dword v105, off, s[20:23], 0 offset:724
	s_waitcnt vmcnt(0) lgkmcnt(22)
	v_mul_f64 v[18:19], v[104:105], v[22:23]
	v_fma_f64 v[18:19], v[102:103], v[20:21], v[18:19]
	v_mul_f64 v[20:21], v[104:105], v[20:21]
	v_fma_f64 v[20:21], v[102:103], v[22:23], -v[20:21]
	;; [unrolled: 10-line block ×6, first 2 shown]
	s_clause 0x3
	buffer_load_dword v102, off, s[20:23], 0 offset:872
	buffer_load_dword v103, off, s[20:23], 0 offset:876
	;; [unrolled: 1-line block ×4, first 2 shown]
	s_waitcnt vmcnt(0) lgkmcnt(16)
	v_mul_f64 v[42:43], v[104:105], v[46:47]
	v_fma_f64 v[42:43], v[102:103], v[44:45], v[42:43]
	v_mul_f64 v[44:45], v[104:105], v[44:45]
	s_clause 0x3
	buffer_load_dword v104, off, s[20:23], 0 offset:888
	buffer_load_dword v105, off, s[20:23], 0 offset:892
	;; [unrolled: 1-line block ×4, first 2 shown]
	v_fma_f64 v[102:103], v[102:103], v[46:47], -v[44:45]
	s_waitcnt vmcnt(0) lgkmcnt(15)
	v_mul_f64 v[44:45], v[106:107], v[50:51]
	v_fma_f64 v[46:47], v[104:105], v[48:49], v[44:45]
	v_mul_f64 v[44:45], v[106:107], v[48:49]
	v_fma_f64 v[48:49], v[104:105], v[50:51], -v[44:45]
	s_clause 0x3
	buffer_load_dword v104, off, s[20:23], 0 offset:1052
	buffer_load_dword v105, off, s[20:23], 0 offset:1056
	buffer_load_dword v106, off, s[20:23], 0 offset:1060
	buffer_load_dword v107, off, s[20:23], 0 offset:1064
	s_waitcnt vmcnt(0) lgkmcnt(13)
	v_mul_f64 v[44:45], v[106:107], v[54:55]
	v_fma_f64 v[50:51], v[104:105], v[52:53], v[44:45]
	v_mul_f64 v[44:45], v[106:107], v[52:53]
	v_fma_f64 v[52:53], v[104:105], v[54:55], -v[44:45]
	s_clause 0x3
	buffer_load_dword v104, off, s[20:23], 0 offset:1084
	buffer_load_dword v105, off, s[20:23], 0 offset:1088
	buffer_load_dword v106, off, s[20:23], 0 offset:1092
	buffer_load_dword v107, off, s[20:23], 0 offset:1096
	;; [unrolled: 10-line block ×3, first 2 shown]
	s_waitcnt vmcnt(0) lgkmcnt(11)
	v_mul_f64 v[44:45], v[58:59], v[62:63]
	v_fma_f64 v[114:115], v[56:57], v[60:61], v[44:45]
	v_mul_f64 v[44:45], v[58:59], v[60:61]
	v_add_f64 v[60:61], v[20:21], -v[24:25]
	v_fma_f64 v[62:63], v[56:57], v[62:63], -v[44:45]
	s_clause 0x3
	buffer_load_dword v56, off, s[20:23], 0 offset:1132
	buffer_load_dword v57, off, s[20:23], 0 offset:1136
	;; [unrolled: 1-line block ×4, first 2 shown]
	s_waitcnt vmcnt(0) lgkmcnt(0)
	s_barrier
	buffer_gl0_inv
	v_mul_f64 v[44:45], v[58:59], v[66:67]
	v_fma_f64 v[116:117], v[56:57], v[64:65], v[44:45]
	v_mul_f64 v[44:45], v[58:59], v[64:65]
	v_add_f64 v[64:65], v[100:101], -v[18:19]
	v_fma_f64 v[119:120], v[56:57], v[66:67], -v[44:45]
	v_mul_f64 v[44:45], v[202:203], v[70:71]
	v_add_f64 v[56:57], v[16:17], -v[32:33]
	v_add_f64 v[66:67], v[26:27], -v[22:23]
	v_fma_f64 v[121:122], v[200:201], v[68:69], v[44:45]
	v_mul_f64 v[44:45], v[202:203], v[68:69]
	v_add_f64 v[64:65], v[64:65], v[66:67]
	v_fma_f64 v[123:124], v[200:201], v[70:71], -v[44:45]
	v_mul_f64 v[44:45], v[226:227], v[74:75]
	v_fma_f64 v[125:126], v[224:225], v[72:73], v[44:45]
	v_mul_f64 v[44:45], v[226:227], v[72:73]
	v_fma_f64 v[127:128], v[224:225], v[74:75], -v[44:45]
	v_mul_f64 v[44:45], v[234:235], v[78:79]
	v_fma_f64 v[129:130], v[232:233], v[76:77], v[44:45]
	v_mul_f64 v[44:45], v[234:235], v[76:77]
	;; [unrolled: 4-line block ×7, first 2 shown]
	v_fma_f64 v[152:153], v[192:193], v[98:99], -v[44:45]
	v_add_f64 v[44:45], v[12:13], v[100:101]
	v_add_f64 v[44:45], v[44:45], v[18:19]
	;; [unrolled: 1-line block ×5, first 2 shown]
	v_fma_f64 v[44:45], v[44:45], -0.5, v[12:13]
	v_fma_f64 v[58:59], v[56:57], s[14:15], v[44:45]
	v_fma_f64 v[44:45], v[56:57], s[6:7], v[44:45]
	;; [unrolled: 1-line block ×6, first 2 shown]
	v_add_f64 v[44:45], v[100:101], v[26:27]
	v_add_f64 v[58:59], v[18:19], -v[100:101]
	v_add_f64 v[64:65], v[22:23], -v[26:27]
	;; [unrolled: 1-line block ×5, first 2 shown]
	v_fma_f64 v[12:13], v[44:45], -0.5, v[12:13]
	v_add_f64 v[58:59], v[58:59], v[64:65]
	v_fma_f64 v[44:45], v[60:61], s[6:7], v[12:13]
	v_fma_f64 v[12:13], v[60:61], s[14:15], v[12:13]
	;; [unrolled: 1-line block ×4, first 2 shown]
	v_add_f64 v[56:57], v[32:33], -v[24:25]
	v_fma_f64 v[104:105], v[58:59], s[2:3], v[44:45]
	v_fma_f64 v[96:97], v[58:59], s[2:3], v[12:13]
	v_add_f64 v[12:13], v[14:15], v[16:17]
	v_add_f64 v[12:13], v[12:13], v[20:21]
	;; [unrolled: 1-line block ×5, first 2 shown]
	v_fma_f64 v[12:13], v[12:13], -0.5, v[14:15]
	v_fma_f64 v[44:45], v[26:27], s[6:7], v[12:13]
	v_fma_f64 v[12:13], v[26:27], s[14:15], v[12:13]
	;; [unrolled: 1-line block ×3, first 2 shown]
	v_add_f64 v[44:45], v[16:17], -v[20:21]
	v_fma_f64 v[12:13], v[18:19], s[4:5], v[12:13]
	v_add_f64 v[44:45], v[44:45], v[56:57]
	v_fma_f64 v[78:79], v[44:45], s[2:3], v[12:13]
	v_add_f64 v[12:13], v[16:17], v[32:33]
	v_add_f64 v[16:17], v[20:21], -v[16:17]
	v_add_f64 v[20:21], v[24:25], -v[32:33]
	v_fma_f64 v[86:87], v[44:45], s[2:3], v[22:23]
	v_add_f64 v[22:23], v[46:47], -v[42:43]
	v_add_f64 v[32:33], v[94:95], -v[90:91]
	v_fma_f64 v[12:13], v[12:13], -0.5, v[14:15]
	v_add_f64 v[16:17], v[16:17], v[20:21]
	v_add_f64 v[20:21], v[34:35], -v[38:39]
	v_fma_f64 v[14:15], v[18:19], s[14:15], v[12:13]
	v_fma_f64 v[12:13], v[18:19], s[6:7], v[12:13]
	v_add_f64 v[18:19], v[40:41], -v[102:103]
	v_add_f64 v[20:21], v[20:21], v[22:23]
	v_fma_f64 v[14:15], v[26:27], s[8:9], v[14:15]
	v_fma_f64 v[12:13], v[26:27], s[4:5], v[12:13]
	;; [unrolled: 1-line block ×4, first 2 shown]
	v_add_f64 v[12:13], v[8:9], v[34:35]
	v_add_f64 v[14:15], v[36:37], -v[48:49]
	ds_write_b128 v135, v[80:83]
	ds_write_b128 v135, v[84:87] offset:400
	ds_write_b128 v135, v[104:107] offset:800
	;; [unrolled: 1-line block ×4, first 2 shown]
	buffer_load_dword v76, off, s[20:23], 0 offset:1208 ; 4-byte Folded Reload
	v_add_f64 v[12:13], v[12:13], v[38:39]
	v_add_f64 v[12:13], v[12:13], v[42:43]
	;; [unrolled: 1-line block ×4, first 2 shown]
	v_fma_f64 v[12:13], v[12:13], -0.5, v[8:9]
	v_fma_f64 v[16:17], v[14:15], s[14:15], v[12:13]
	v_fma_f64 v[12:13], v[14:15], s[6:7], v[12:13]
	v_fma_f64 v[16:17], v[18:19], s[4:5], v[16:17]
	v_fma_f64 v[12:13], v[18:19], s[8:9], v[12:13]
	v_fma_f64 v[56:57], v[20:21], s[2:3], v[16:17]
	v_fma_f64 v[44:45], v[20:21], s[2:3], v[12:13]
	v_add_f64 v[12:13], v[34:35], v[46:47]
	v_add_f64 v[16:17], v[38:39], -v[34:35]
	v_add_f64 v[20:21], v[42:43], -v[46:47]
	v_fma_f64 v[8:9], v[12:13], -0.5, v[8:9]
	v_add_f64 v[16:17], v[16:17], v[20:21]
	v_add_f64 v[20:21], v[48:49], -v[102:103]
	v_fma_f64 v[12:13], v[18:19], s[6:7], v[8:9]
	v_fma_f64 v[8:9], v[18:19], s[14:15], v[8:9]
	v_add_f64 v[18:19], v[36:37], -v[40:41]
	v_fma_f64 v[12:13], v[14:15], s[4:5], v[12:13]
	v_fma_f64 v[8:9], v[14:15], s[8:9], v[8:9]
	v_add_f64 v[18:19], v[18:19], v[20:21]
	v_fma_f64 v[64:65], v[16:17], s[2:3], v[12:13]
	v_fma_f64 v[108:109], v[16:17], s[2:3], v[8:9]
	v_add_f64 v[8:9], v[10:11], v[36:37]
	v_add_f64 v[12:13], v[34:35], -v[46:47]
	v_add_f64 v[16:17], v[38:39], -v[42:43]
	;; [unrolled: 1-line block ×3, first 2 shown]
	v_add_f64 v[8:9], v[8:9], v[40:41]
	v_add_f64 v[8:9], v[8:9], v[102:103]
	;; [unrolled: 1-line block ×4, first 2 shown]
	v_fma_f64 v[8:9], v[8:9], -0.5, v[10:11]
	v_fma_f64 v[14:15], v[12:13], s[6:7], v[8:9]
	v_fma_f64 v[8:9], v[12:13], s[14:15], v[8:9]
	v_fma_f64 v[14:15], v[16:17], s[8:9], v[14:15]
	v_fma_f64 v[8:9], v[16:17], s[4:5], v[8:9]
	v_fma_f64 v[58:59], v[18:19], s[2:3], v[14:15]
	v_fma_f64 v[46:47], v[18:19], s[2:3], v[8:9]
	v_add_f64 v[8:9], v[36:37], v[48:49]
	v_add_f64 v[14:15], v[40:41], -v[36:37]
	v_add_f64 v[18:19], v[102:103], -v[48:49]
	v_fma_f64 v[8:9], v[8:9], -0.5, v[10:11]
	v_add_f64 v[14:15], v[14:15], v[18:19]
	v_add_f64 v[18:19], v[116:117], -v[114:115]
	v_fma_f64 v[10:11], v[16:17], s[14:15], v[8:9]
	v_fma_f64 v[8:9], v[16:17], s[6:7], v[8:9]
	v_add_f64 v[16:17], v[50:51], -v[54:55]
	v_fma_f64 v[10:11], v[12:13], s[8:9], v[10:11]
	v_fma_f64 v[8:9], v[12:13], s[4:5], v[8:9]
	v_add_f64 v[16:17], v[16:17], v[18:19]
	v_add_f64 v[18:19], v[136:137], -v[131:132]
	v_fma_f64 v[66:67], v[14:15], s[2:3], v[10:11]
	v_fma_f64 v[110:111], v[14:15], s[2:3], v[8:9]
	v_add_f64 v[8:9], v[4:5], v[50:51]
	v_add_f64 v[10:11], v[52:53], -v[119:120]
	v_add_f64 v[14:15], v[112:113], -v[62:63]
	s_waitcnt vmcnt(0)
	ds_write_b128 v76, v[68:71]
	ds_write_b128 v76, v[56:59] offset:400
	ds_write_b128 v76, v[64:67] offset:800
	;; [unrolled: 1-line block ×4, first 2 shown]
	buffer_load_dword v44, off, s[20:23], 0 offset:1200 ; 4-byte Folded Reload
	v_add_f64 v[8:9], v[8:9], v[54:55]
	v_add_f64 v[8:9], v[8:9], v[114:115]
	;; [unrolled: 1-line block ×4, first 2 shown]
	v_fma_f64 v[8:9], v[8:9], -0.5, v[4:5]
	v_fma_f64 v[12:13], v[10:11], s[14:15], v[8:9]
	v_fma_f64 v[8:9], v[10:11], s[6:7], v[8:9]
	;; [unrolled: 1-line block ×6, first 2 shown]
	v_add_f64 v[8:9], v[50:51], v[116:117]
	v_add_f64 v[12:13], v[54:55], -v[50:51]
	v_add_f64 v[16:17], v[114:115], -v[116:117]
	v_fma_f64 v[4:5], v[8:9], -0.5, v[4:5]
	v_add_f64 v[12:13], v[12:13], v[16:17]
	v_add_f64 v[16:17], v[119:120], -v[62:63]
	v_fma_f64 v[8:9], v[14:15], s[6:7], v[4:5]
	v_fma_f64 v[4:5], v[14:15], s[14:15], v[4:5]
	v_add_f64 v[14:15], v[52:53], -v[112:113]
	v_fma_f64 v[8:9], v[10:11], s[4:5], v[8:9]
	v_fma_f64 v[4:5], v[10:11], s[8:9], v[4:5]
	v_add_f64 v[14:15], v[14:15], v[16:17]
	v_add_f64 v[16:17], v[133:134], -v[129:130]
	v_fma_f64 v[72:73], v[12:13], s[2:3], v[8:9]
	v_fma_f64 v[60:61], v[12:13], s[2:3], v[4:5]
	v_add_f64 v[4:5], v[6:7], v[52:53]
	v_add_f64 v[8:9], v[50:51], -v[116:117]
	v_add_f64 v[12:13], v[54:55], -v[114:115]
	v_add_f64 v[4:5], v[4:5], v[112:113]
	v_add_f64 v[4:5], v[4:5], v[62:63]
	;; [unrolled: 1-line block ×4, first 2 shown]
	v_fma_f64 v[4:5], v[4:5], -0.5, v[6:7]
	v_fma_f64 v[10:11], v[8:9], s[6:7], v[4:5]
	v_fma_f64 v[4:5], v[8:9], s[14:15], v[4:5]
	;; [unrolled: 1-line block ×6, first 2 shown]
	v_add_f64 v[4:5], v[52:53], v[119:120]
	v_add_f64 v[10:11], v[112:113], -v[52:53]
	v_add_f64 v[14:15], v[62:63], -v[119:120]
	v_fma_f64 v[4:5], v[4:5], -0.5, v[6:7]
	v_add_f64 v[10:11], v[10:11], v[14:15]
	v_add_f64 v[14:15], v[121:122], -v[125:126]
	v_fma_f64 v[6:7], v[12:13], s[14:15], v[4:5]
	v_fma_f64 v[4:5], v[12:13], s[6:7], v[4:5]
	v_add_f64 v[14:15], v[14:15], v[16:17]
	v_add_f64 v[16:17], v[129:130], -v[133:134]
	v_fma_f64 v[6:7], v[8:9], s[8:9], v[6:7]
	v_fma_f64 v[4:5], v[8:9], s[4:5], v[4:5]
	v_fma_f64 v[74:75], v[10:11], s[2:3], v[6:7]
	v_fma_f64 v[62:63], v[10:11], s[2:3], v[4:5]
	v_add_f64 v[4:5], v[0:1], v[121:122]
	v_add_f64 v[6:7], v[123:124], -v[136:137]
	v_add_f64 v[10:11], v[127:128], -v[131:132]
	s_waitcnt vmcnt(0)
	ds_write_b128 v44, v[24:27]
	ds_write_b128 v44, v[36:39] offset:400
	ds_write_b128 v44, v[72:75] offset:800
	;; [unrolled: 1-line block ×4, first 2 shown]
	buffer_load_dword v20, off, s[20:23], 0 offset:768 ; 4-byte Folded Reload
	v_add_f64 v[4:5], v[4:5], v[125:126]
	v_add_f64 v[4:5], v[4:5], v[129:130]
	;; [unrolled: 1-line block ×4, first 2 shown]
	v_fma_f64 v[4:5], v[4:5], -0.5, v[0:1]
	v_fma_f64 v[8:9], v[6:7], s[14:15], v[4:5]
	v_fma_f64 v[4:5], v[6:7], s[6:7], v[4:5]
	;; [unrolled: 1-line block ×6, first 2 shown]
	v_add_f64 v[4:5], v[121:122], v[133:134]
	v_add_f64 v[14:15], v[125:126], -v[121:122]
	v_fma_f64 v[0:1], v[4:5], -0.5, v[0:1]
	v_add_f64 v[14:15], v[14:15], v[16:17]
	v_add_f64 v[16:17], v[125:126], -v[129:130]
	v_fma_f64 v[4:5], v[10:11], s[6:7], v[0:1]
	v_fma_f64 v[0:1], v[10:11], s[14:15], v[0:1]
	v_add_f64 v[10:11], v[123:124], -v[127:128]
	v_fma_f64 v[4:5], v[6:7], s[4:5], v[4:5]
	v_fma_f64 v[0:1], v[6:7], s[8:9], v[0:1]
	v_add_f64 v[10:11], v[10:11], v[18:19]
	v_add_f64 v[18:19], v[131:132], -v[136:137]
	v_fma_f64 v[52:53], v[14:15], s[2:3], v[4:5]
	v_fma_f64 v[48:49], v[14:15], s[2:3], v[0:1]
	v_add_f64 v[0:1], v[2:3], v[123:124]
	v_add_f64 v[4:5], v[121:122], -v[133:134]
	v_add_f64 v[0:1], v[0:1], v[127:128]
	v_add_f64 v[0:1], v[0:1], v[131:132]
	;; [unrolled: 1-line block ×4, first 2 shown]
	v_fma_f64 v[0:1], v[0:1], -0.5, v[2:3]
	v_fma_f64 v[6:7], v[4:5], s[6:7], v[0:1]
	v_fma_f64 v[0:1], v[4:5], s[14:15], v[0:1]
	;; [unrolled: 1-line block ×6, first 2 shown]
	v_add_f64 v[0:1], v[123:124], v[136:137]
	v_add_f64 v[6:7], v[127:128], -v[123:124]
	v_fma_f64 v[0:1], v[0:1], -0.5, v[2:3]
	v_add_f64 v[6:7], v[6:7], v[18:19]
	v_add_f64 v[18:19], v[88:89], -v[92:93]
	v_fma_f64 v[2:3], v[16:17], s[14:15], v[0:1]
	v_fma_f64 v[0:1], v[16:17], s[6:7], v[0:1]
	v_add_f64 v[16:17], v[138:139], -v[146:147]
	v_fma_f64 v[2:3], v[4:5], s[8:9], v[2:3]
	v_fma_f64 v[0:1], v[4:5], s[4:5], v[0:1]
	v_add_f64 v[32:33], v[16:17], v[32:33]
	v_fma_f64 v[54:55], v[6:7], s[2:3], v[2:3]
	v_fma_f64 v[50:51], v[6:7], s[2:3], v[0:1]
	v_add_f64 v[0:1], v[28:29], v[138:139]
	v_add_f64 v[2:3], v[144:145], -v[152:153]
	s_waitcnt vmcnt(0)
	ds_write_b128 v20, v[12:15]
	ds_write_b128 v20, v[40:43] offset:400
	ds_write_b128 v20, v[52:55] offset:800
	;; [unrolled: 1-line block ×4, first 2 shown]
	buffer_load_dword v8, off, s[20:23], 0 offset:556 ; 4-byte Folded Reload
	v_add_f64 v[0:1], v[0:1], v[146:147]
	v_add_f64 v[0:1], v[0:1], v[90:91]
	;; [unrolled: 1-line block ×4, first 2 shown]
	v_add_f64 v[90:91], v[146:147], -v[90:91]
	v_fma_f64 v[0:1], v[0:1], -0.5, v[28:29]
	v_fma_f64 v[6:7], v[2:3], s[14:15], v[0:1]
	v_fma_f64 v[0:1], v[2:3], s[6:7], v[0:1]
	;; [unrolled: 1-line block ×5, first 2 shown]
	v_add_f64 v[6:7], v[138:139], v[94:95]
	v_fma_f64 v[0:1], v[32:33], s[2:3], v[0:1]
	v_add_f64 v[32:33], v[146:147], -v[138:139]
	v_add_f64 v[94:95], v[138:139], -v[94:95]
	v_fma_f64 v[6:7], v[6:7], -0.5, v[28:29]
	v_add_f64 v[34:35], v[32:33], v[34:35]
	v_fma_f64 v[28:29], v[18:19], s[6:7], v[6:7]
	v_fma_f64 v[6:7], v[18:19], s[14:15], v[6:7]
	;; [unrolled: 1-line block ×6, first 2 shown]
	v_add_f64 v[2:3], v[30:31], v[144:145]
	v_add_f64 v[34:35], v[144:145], -v[88:89]
	v_add_f64 v[2:3], v[2:3], v[88:89]
	v_add_f64 v[34:35], v[34:35], v[100:101]
	;; [unrolled: 1-line block ×5, first 2 shown]
	v_add_f64 v[88:89], v[88:89], -v[144:145]
	v_add_f64 v[92:93], v[92:93], -v[152:153]
	v_fma_f64 v[2:3], v[2:3], -0.5, v[30:31]
	v_add_f64 v[88:89], v[88:89], v[92:93]
	v_fma_f64 v[18:19], v[94:95], s[6:7], v[2:3]
	v_fma_f64 v[2:3], v[94:95], s[14:15], v[2:3]
	;; [unrolled: 1-line block ×6, first 2 shown]
	v_add_f64 v[34:35], v[144:145], v[152:153]
	v_fma_f64 v[30:31], v[34:35], -0.5, v[30:31]
	v_fma_f64 v[34:35], v[90:91], s[14:15], v[30:31]
	v_fma_f64 v[30:31], v[90:91], s[6:7], v[30:31]
	;; [unrolled: 1-line block ×6, first 2 shown]
	s_waitcnt vmcnt(0)
	ds_write_b128 v8, v[4:7]
	ds_write_b128 v8, v[16:19] offset:400
	ds_write_b128 v8, v[32:35] offset:800
	;; [unrolled: 1-line block ×4, first 2 shown]
	s_waitcnt lgkmcnt(0)
	s_barrier
	buffer_gl0_inv
	ds_read_b128 v[20:23], v118
	ds_read_b128 v[4:7], v118 offset:10000
	ds_read_b128 v[8:11], v118 offset:20000
	;; [unrolled: 1-line block ×24, first 2 shown]
	s_waitcnt lgkmcnt(23)
	v_mul_f64 v[36:37], v[142:143], v[6:7]
	v_fma_f64 v[36:37], v[140:141], v[4:5], v[36:37]
	v_mul_f64 v[4:5], v[142:143], v[4:5]
	v_fma_f64 v[40:41], v[140:141], v[6:7], -v[4:5]
	s_waitcnt lgkmcnt(22)
	v_mul_f64 v[4:5], v[150:151], v[10:11]
	v_fma_f64 v[48:49], v[148:149], v[8:9], v[4:5]
	v_mul_f64 v[4:5], v[150:151], v[8:9]
	s_clause 0x3
	buffer_load_dword v6, off, s[20:23], 0 offset:564
	buffer_load_dword v7, off, s[20:23], 0 offset:568
	;; [unrolled: 1-line block ×4, first 2 shown]
	v_fma_f64 v[119:120], v[148:149], v[10:11], -v[4:5]
	s_waitcnt lgkmcnt(21)
	v_mul_f64 v[4:5], v[158:159], v[18:19]
	v_fma_f64 v[10:11], v[156:157], v[16:17], v[4:5]
	v_mul_f64 v[4:5], v[158:159], v[16:17]
	v_add_f64 v[16:17], v[36:37], -v[48:49]
	v_fma_f64 v[121:122], v[156:157], v[18:19], -v[4:5]
	s_waitcnt lgkmcnt(20)
	v_mul_f64 v[4:5], v[162:163], v[26:27]
	v_fma_f64 v[18:19], v[160:161], v[24:25], v[4:5]
	v_mul_f64 v[4:5], v[162:163], v[24:25]
	v_add_f64 v[24:25], v[18:19], -v[10:11]
	v_fma_f64 v[26:27], v[160:161], v[26:27], -v[4:5]
	s_waitcnt lgkmcnt(18)
	v_mul_f64 v[4:5], v[142:143], v[30:31]
	v_add_f64 v[24:25], v[16:17], v[24:25]
	v_fma_f64 v[38:39], v[140:141], v[28:29], v[4:5]
	v_mul_f64 v[4:5], v[142:143], v[28:29]
	v_add_f64 v[28:29], v[40:41], -v[26:27]
	v_fma_f64 v[50:51], v[140:141], v[30:31], -v[4:5]
	s_waitcnt lgkmcnt(17)
	v_mul_f64 v[4:5], v[150:151], v[54:55]
	v_add_f64 v[30:31], v[119:120], -v[121:122]
	v_fma_f64 v[42:43], v[148:149], v[52:53], v[4:5]
	v_mul_f64 v[4:5], v[150:151], v[52:53]
	v_fma_f64 v[52:53], v[148:149], v[54:55], -v[4:5]
	s_waitcnt lgkmcnt(16)
	v_mul_f64 v[4:5], v[158:159], v[58:59]
	v_fma_f64 v[123:124], v[156:157], v[56:57], v[4:5]
	v_mul_f64 v[4:5], v[158:159], v[56:57]
	v_fma_f64 v[54:55], v[156:157], v[58:59], -v[4:5]
	s_waitcnt lgkmcnt(15)
	v_mul_f64 v[4:5], v[162:163], v[62:63]
	v_fma_f64 v[125:126], v[160:161], v[60:61], v[4:5]
	v_mul_f64 v[4:5], v[162:163], v[60:61]
	v_add_f64 v[60:61], v[10:11], -v[18:19]
	v_fma_f64 v[56:57], v[160:161], v[62:63], -v[4:5]
	s_waitcnt vmcnt(0) lgkmcnt(13)
	v_mul_f64 v[4:5], v[8:9], v[66:67]
	v_fma_f64 v[58:59], v[6:7], v[64:65], v[4:5]
	v_mul_f64 v[4:5], v[8:9], v[64:65]
	v_add_f64 v[64:65], v[52:53], -v[54:55]
	v_fma_f64 v[66:67], v[6:7], v[66:67], -v[4:5]
	s_clause 0x3
	buffer_load_dword v6, off, s[20:23], 0 offset:580
	buffer_load_dword v7, off, s[20:23], 0 offset:584
	buffer_load_dword v8, off, s[20:23], 0 offset:588
	buffer_load_dword v9, off, s[20:23], 0 offset:592
	s_waitcnt vmcnt(0) lgkmcnt(12)
	v_mul_f64 v[4:5], v[8:9], v[70:71]
	v_fma_f64 v[62:63], v[6:7], v[68:69], v[4:5]
	v_mul_f64 v[4:5], v[8:9], v[68:69]
	v_fma_f64 v[68:69], v[6:7], v[70:71], -v[4:5]
	s_clause 0x3
	buffer_load_dword v6, off, s[20:23], 0 offset:596
	buffer_load_dword v7, off, s[20:23], 0 offset:600
	buffer_load_dword v8, off, s[20:23], 0 offset:604
	buffer_load_dword v9, off, s[20:23], 0 offset:608
	s_waitcnt vmcnt(0) lgkmcnt(11)
	v_mul_f64 v[4:5], v[8:9], v[74:75]
	v_fma_f64 v[76:77], v[6:7], v[72:73], v[4:5]
	v_mul_f64 v[4:5], v[8:9], v[72:73]
	;; [unrolled: 10-line block ×10, first 2 shown]
	v_add_f64 v[110:111], v[123:124], -v[125:126]
	v_fma_f64 v[102:103], v[6:7], v[112:113], -v[4:5]
	s_clause 0x3
	buffer_load_dword v6, off, s[20:23], 0 offset:824
	buffer_load_dword v7, off, s[20:23], 0 offset:828
	;; [unrolled: 1-line block ×4, first 2 shown]
	v_add_f64 v[112:113], v[56:57], -v[54:55]
	s_waitcnt vmcnt(0) lgkmcnt(0)
	s_barrier
	buffer_gl0_inv
	v_mul_f64 v[4:5], v[8:9], v[116:117]
	v_fma_f64 v[108:109], v[6:7], v[114:115], v[4:5]
	v_mul_f64 v[4:5], v[8:9], v[114:115]
	v_add_f64 v[114:115], v[76:77], -v[80:81]
	v_fma_f64 v[104:105], v[6:7], v[116:117], -v[4:5]
	v_add_f64 v[6:7], v[48:49], v[10:11]
	v_add_f64 v[4:5], v[20:21], v[36:37]
	v_fma_f64 v[6:7], v[6:7], -0.5, v[20:21]
	v_add_f64 v[4:5], v[4:5], v[48:49]
	v_fma_f64 v[8:9], v[28:29], s[14:15], v[6:7]
	v_fma_f64 v[6:7], v[28:29], s[6:7], v[6:7]
	v_add_f64 v[4:5], v[4:5], v[10:11]
	v_fma_f64 v[8:9], v[30:31], s[4:5], v[8:9]
	v_fma_f64 v[6:7], v[30:31], s[8:9], v[6:7]
	;; [unrolled: 3-line block ×3, first 2 shown]
	v_add_f64 v[6:7], v[36:37], v[18:19]
	v_add_f64 v[24:25], v[48:49], -v[36:37]
	v_fma_f64 v[6:7], v[6:7], -0.5, v[20:21]
	v_add_f64 v[60:61], v[24:25], v[60:61]
	v_fma_f64 v[20:21], v[30:31], s[6:7], v[6:7]
	v_fma_f64 v[6:7], v[30:31], s[14:15], v[6:7]
	v_add_f64 v[30:31], v[36:37], -v[18:19]
	v_add_f64 v[36:37], v[48:49], -v[10:11]
	;; [unrolled: 1-line block ×3, first 2 shown]
	v_fma_f64 v[20:21], v[28:29], s[4:5], v[20:21]
	v_fma_f64 v[6:7], v[28:29], s[8:9], v[6:7]
	v_add_f64 v[28:29], v[119:120], v[121:122]
	v_fma_f64 v[24:25], v[60:61], s[2:3], v[20:21]
	v_fma_f64 v[20:21], v[60:61], s[2:3], v[6:7]
	v_fma_f64 v[28:29], v[28:29], -0.5, v[22:23]
	v_add_f64 v[6:7], v[22:23], v[40:41]
	v_add_f64 v[60:61], v[50:51], -v[56:57]
	v_fma_f64 v[18:19], v[30:31], s[6:7], v[28:29]
	v_add_f64 v[6:7], v[6:7], v[119:120]
	v_fma_f64 v[10:11], v[36:37], s[8:9], v[18:19]
	v_add_f64 v[18:19], v[40:41], -v[119:120]
	v_add_f64 v[6:7], v[6:7], v[121:122]
	v_add_f64 v[48:49], v[18:19], v[48:49]
	;; [unrolled: 1-line block ×3, first 2 shown]
	v_fma_f64 v[18:19], v[48:49], s[2:3], v[10:11]
	v_fma_f64 v[10:11], v[30:31], s[14:15], v[28:29]
	v_add_f64 v[28:29], v[40:41], v[26:27]
	v_add_f64 v[40:41], v[119:120], -v[40:41]
	v_add_f64 v[26:27], v[121:122], -v[26:27]
	v_fma_f64 v[10:11], v[36:37], s[4:5], v[10:11]
	v_fma_f64 v[22:23], v[28:29], -0.5, v[22:23]
	v_add_f64 v[40:41], v[40:41], v[26:27]
	v_fma_f64 v[10:11], v[48:49], s[2:3], v[10:11]
	v_fma_f64 v[28:29], v[36:37], s[14:15], v[22:23]
	;; [unrolled: 1-line block ×3, first 2 shown]
	v_add_f64 v[48:49], v[125:126], -v[123:124]
	v_fma_f64 v[28:29], v[30:31], s[8:9], v[28:29]
	v_fma_f64 v[22:23], v[30:31], s[4:5], v[22:23]
	v_add_f64 v[30:31], v[42:43], v[123:124]
	v_fma_f64 v[26:27], v[40:41], s[2:3], v[28:29]
	v_fma_f64 v[22:23], v[40:41], s[2:3], v[22:23]
	v_fma_f64 v[30:31], v[30:31], -0.5, v[44:45]
	v_add_f64 v[40:41], v[38:39], -v[42:43]
	v_add_f64 v[28:29], v[44:45], v[38:39]
	v_fma_f64 v[36:37], v[60:61], s[14:15], v[30:31]
	v_fma_f64 v[30:31], v[60:61], s[6:7], v[30:31]
	v_add_f64 v[48:49], v[40:41], v[48:49]
	v_add_f64 v[28:29], v[28:29], v[42:43]
	v_fma_f64 v[36:37], v[64:65], s[4:5], v[36:37]
	v_fma_f64 v[30:31], v[64:65], s[8:9], v[30:31]
	v_add_f64 v[28:29], v[28:29], v[123:124]
	v_fma_f64 v[40:41], v[48:49], s[2:3], v[36:37]
	v_fma_f64 v[36:37], v[48:49], s[2:3], v[30:31]
	v_add_f64 v[30:31], v[38:39], v[125:126]
	v_add_f64 v[48:49], v[42:43], -v[38:39]
	v_add_f64 v[28:29], v[28:29], v[125:126]
	v_fma_f64 v[30:31], v[30:31], -0.5, v[44:45]
	v_add_f64 v[110:111], v[48:49], v[110:111]
	v_fma_f64 v[44:45], v[64:65], s[6:7], v[30:31]
	v_fma_f64 v[30:31], v[64:65], s[14:15], v[30:31]
	v_add_f64 v[64:65], v[38:39], -v[125:126]
	v_fma_f64 v[44:45], v[60:61], s[4:5], v[44:45]
	v_fma_f64 v[30:31], v[60:61], s[8:9], v[30:31]
	v_add_f64 v[60:61], v[52:53], v[54:55]
	v_fma_f64 v[48:49], v[110:111], s[2:3], v[44:45]
	v_fma_f64 v[44:45], v[110:111], s[2:3], v[30:31]
	v_fma_f64 v[60:61], v[60:61], -0.5, v[46:47]
	v_add_f64 v[110:111], v[42:43], -v[123:124]
	v_add_f64 v[42:43], v[50:51], -v[52:53]
	v_add_f64 v[30:31], v[46:47], v[50:51]
	v_fma_f64 v[38:39], v[64:65], s[6:7], v[60:61]
	v_add_f64 v[112:113], v[42:43], v[112:113]
	v_add_f64 v[30:31], v[30:31], v[52:53]
	v_fma_f64 v[38:39], v[110:111], s[8:9], v[38:39]
	v_add_f64 v[30:31], v[30:31], v[54:55]
	v_fma_f64 v[42:43], v[112:113], s[2:3], v[38:39]
	v_fma_f64 v[38:39], v[64:65], s[14:15], v[60:61]
	v_add_f64 v[60:61], v[50:51], v[56:57]
	v_add_f64 v[50:51], v[52:53], -v[50:51]
	v_add_f64 v[52:53], v[54:55], -v[56:57]
	v_add_f64 v[54:55], v[62:63], v[76:77]
	v_add_f64 v[30:31], v[30:31], v[56:57]
	v_fma_f64 v[38:39], v[110:111], s[4:5], v[38:39]
	v_fma_f64 v[46:47], v[60:61], -0.5, v[46:47]
	v_add_f64 v[52:53], v[50:51], v[52:53]
	v_fma_f64 v[54:55], v[54:55], -0.5, v[32:33]
	v_fma_f64 v[38:39], v[112:113], s[2:3], v[38:39]
	v_fma_f64 v[60:61], v[110:111], s[14:15], v[46:47]
	;; [unrolled: 1-line block ×3, first 2 shown]
	v_add_f64 v[110:111], v[66:67], -v[72:73]
	v_add_f64 v[112:113], v[68:69], -v[70:71]
	v_fma_f64 v[60:61], v[64:65], s[8:9], v[60:61]
	v_fma_f64 v[46:47], v[64:65], s[4:5], v[46:47]
	;; [unrolled: 1-line block ×3, first 2 shown]
	v_add_f64 v[64:65], v[80:81], -v[76:77]
	v_fma_f64 v[54:55], v[110:111], s[6:7], v[54:55]
	v_fma_f64 v[50:51], v[52:53], s[2:3], v[60:61]
	;; [unrolled: 1-line block ×3, first 2 shown]
	ds_write_b128 v118, v[4:7]
	ds_write_b128 v118, v[16:19] offset:2000
	ds_write_b128 v118, v[24:27] offset:4000
	;; [unrolled: 1-line block ×9, first 2 shown]
	buffer_load_dword v4, off, s[20:23], 0 offset:1000 ; 4-byte Folded Reload
	v_add_f64 v[60:61], v[58:59], -v[62:63]
	v_fma_f64 v[56:57], v[112:113], s[4:5], v[56:57]
	v_fma_f64 v[54:55], v[112:113], s[8:9], v[54:55]
	v_add_f64 v[52:53], v[32:33], v[58:59]
	v_add_f64 v[64:65], v[60:61], v[64:65]
	;; [unrolled: 1-line block ×3, first 2 shown]
	v_fma_f64 v[60:61], v[64:65], s[2:3], v[56:57]
	v_fma_f64 v[56:57], v[64:65], s[2:3], v[54:55]
	v_add_f64 v[54:55], v[58:59], v[80:81]
	v_add_f64 v[52:53], v[52:53], v[76:77]
	v_add_f64 v[64:65], v[62:63], -v[58:59]
	v_add_f64 v[76:77], v[62:63], -v[76:77]
	;; [unrolled: 1-line block ×3, first 2 shown]
	v_fma_f64 v[32:33], v[54:55], -0.5, v[32:33]
	v_add_f64 v[52:53], v[52:53], v[80:81]
	v_add_f64 v[80:81], v[58:59], -v[80:81]
	v_add_f64 v[114:115], v[64:65], v[114:115]
	v_fma_f64 v[54:55], v[112:113], s[6:7], v[32:33]
	v_fma_f64 v[32:33], v[112:113], s[14:15], v[32:33]
	v_add_f64 v[112:113], v[72:73], -v[70:71]
	v_fma_f64 v[54:55], v[110:111], s[4:5], v[54:55]
	v_fma_f64 v[32:33], v[110:111], s[8:9], v[32:33]
	v_add_f64 v[110:111], v[68:69], v[70:71]
	v_add_f64 v[112:113], v[62:63], v[112:113]
	v_fma_f64 v[64:65], v[114:115], s[2:3], v[54:55]
	v_add_f64 v[54:55], v[34:35], v[66:67]
	v_fma_f64 v[110:111], v[110:111], -0.5, v[34:35]
	v_fma_f64 v[32:33], v[114:115], s[2:3], v[32:33]
	v_add_f64 v[114:115], v[92:93], -v[96:97]
	v_add_f64 v[54:55], v[54:55], v[68:69]
	v_fma_f64 v[58:59], v[80:81], s[6:7], v[110:111]
	v_add_f64 v[54:55], v[54:55], v[70:71]
	v_fma_f64 v[58:59], v[76:77], s[8:9], v[58:59]
	;; [unrolled: 2-line block ×3, first 2 shown]
	v_fma_f64 v[58:59], v[80:81], s[14:15], v[110:111]
	v_add_f64 v[110:111], v[66:67], v[72:73]
	v_add_f64 v[66:67], v[68:69], -v[66:67]
	v_add_f64 v[68:69], v[70:71], -v[72:73]
	v_add_f64 v[70:71], v[78:79], v[92:93]
	v_fma_f64 v[58:59], v[76:77], s[4:5], v[58:59]
	v_fma_f64 v[34:35], v[110:111], -0.5, v[34:35]
	v_add_f64 v[68:69], v[66:67], v[68:69]
	v_fma_f64 v[70:71], v[70:71], -0.5, v[12:13]
	v_fma_f64 v[58:59], v[112:113], s[2:3], v[58:59]
	v_fma_f64 v[110:111], v[76:77], s[14:15], v[34:35]
	;; [unrolled: 1-line block ×3, first 2 shown]
	v_add_f64 v[112:113], v[84:85], -v[86:87]
	v_add_f64 v[76:77], v[74:75], -v[78:79]
	v_fma_f64 v[110:111], v[80:81], s[8:9], v[110:111]
	v_fma_f64 v[34:35], v[80:81], s[4:5], v[34:35]
	v_add_f64 v[80:81], v[96:97], -v[92:93]
	v_fma_f64 v[66:67], v[68:69], s[2:3], v[110:111]
	v_fma_f64 v[34:35], v[68:69], s[2:3], v[34:35]
	v_add_f64 v[110:111], v[82:83], -v[88:89]
	s_waitcnt vmcnt(0)
	ds_write_b128 v4, v[52:55] offset:20000
	ds_write_b128 v4, v[60:63] offset:22000
	;; [unrolled: 1-line block ×5, first 2 shown]
	buffer_load_dword v4, off, s[20:23], 0 offset:788 ; 4-byte Folded Reload
	v_fma_f64 v[72:73], v[110:111], s[14:15], v[70:71]
	v_fma_f64 v[70:71], v[110:111], s[6:7], v[70:71]
	v_add_f64 v[80:81], v[76:77], v[80:81]
	v_add_f64 v[68:69], v[12:13], v[74:75]
	v_fma_f64 v[72:73], v[112:113], s[4:5], v[72:73]
	v_fma_f64 v[70:71], v[112:113], s[8:9], v[70:71]
	v_add_f64 v[68:69], v[68:69], v[78:79]
	v_fma_f64 v[76:77], v[80:81], s[2:3], v[72:73]
	v_fma_f64 v[72:73], v[80:81], s[2:3], v[70:71]
	v_add_f64 v[70:71], v[74:75], v[96:97]
	v_add_f64 v[68:69], v[68:69], v[92:93]
	v_add_f64 v[80:81], v[78:79], -v[74:75]
	v_add_f64 v[92:93], v[78:79], -v[92:93]
	;; [unrolled: 1-line block ×3, first 2 shown]
	v_fma_f64 v[12:13], v[70:71], -0.5, v[12:13]
	v_add_f64 v[68:69], v[68:69], v[96:97]
	v_add_f64 v[96:97], v[74:75], -v[96:97]
	v_add_f64 v[114:115], v[80:81], v[114:115]
	v_fma_f64 v[70:71], v[112:113], s[6:7], v[12:13]
	v_fma_f64 v[12:13], v[112:113], s[14:15], v[12:13]
	v_add_f64 v[112:113], v[88:89], -v[86:87]
	v_fma_f64 v[70:71], v[110:111], s[4:5], v[70:71]
	v_fma_f64 v[12:13], v[110:111], s[8:9], v[12:13]
	v_add_f64 v[110:111], v[84:85], v[86:87]
	v_add_f64 v[112:113], v[78:79], v[112:113]
	v_fma_f64 v[80:81], v[114:115], s[2:3], v[70:71]
	v_add_f64 v[70:71], v[14:15], v[82:83]
	v_fma_f64 v[110:111], v[110:111], -0.5, v[14:15]
	v_fma_f64 v[12:13], v[114:115], s[2:3], v[12:13]
	v_add_f64 v[114:115], v[106:107], -v[108:109]
	v_add_f64 v[70:71], v[70:71], v[84:85]
	v_fma_f64 v[74:75], v[96:97], s[6:7], v[110:111]
	v_add_f64 v[70:71], v[70:71], v[86:87]
	v_fma_f64 v[74:75], v[92:93], s[8:9], v[74:75]
	;; [unrolled: 2-line block ×3, first 2 shown]
	v_fma_f64 v[74:75], v[96:97], s[14:15], v[110:111]
	v_add_f64 v[110:111], v[82:83], v[88:89]
	v_add_f64 v[82:83], v[84:85], -v[82:83]
	v_add_f64 v[84:85], v[86:87], -v[88:89]
	v_add_f64 v[86:87], v[94:95], v[106:107]
	v_fma_f64 v[74:75], v[92:93], s[4:5], v[74:75]
	v_fma_f64 v[14:15], v[110:111], -0.5, v[14:15]
	v_add_f64 v[84:85], v[82:83], v[84:85]
	v_fma_f64 v[86:87], v[86:87], -0.5, v[0:1]
	v_fma_f64 v[74:75], v[112:113], s[2:3], v[74:75]
	v_fma_f64 v[110:111], v[92:93], s[14:15], v[14:15]
	;; [unrolled: 1-line block ×3, first 2 shown]
	v_add_f64 v[112:113], v[100:101], -v[102:103]
	v_add_f64 v[92:93], v[90:91], -v[94:95]
	v_fma_f64 v[110:111], v[96:97], s[8:9], v[110:111]
	v_fma_f64 v[14:15], v[96:97], s[4:5], v[14:15]
	v_add_f64 v[96:97], v[108:109], -v[106:107]
	v_fma_f64 v[82:83], v[84:85], s[2:3], v[110:111]
	v_fma_f64 v[14:15], v[84:85], s[2:3], v[14:15]
	v_add_f64 v[110:111], v[98:99], -v[104:105]
	s_waitcnt vmcnt(0)
	ds_write_b128 v4, v[68:71] offset:30000
	ds_write_b128 v4, v[76:79] offset:32000
	;; [unrolled: 1-line block ×5, first 2 shown]
	buffer_load_dword v4, off, s[20:23], 0 offset:728 ; 4-byte Folded Reload
	v_fma_f64 v[88:89], v[110:111], s[14:15], v[86:87]
	v_fma_f64 v[86:87], v[110:111], s[6:7], v[86:87]
	v_add_f64 v[96:97], v[92:93], v[96:97]
	v_add_f64 v[84:85], v[0:1], v[90:91]
	v_fma_f64 v[88:89], v[112:113], s[4:5], v[88:89]
	v_fma_f64 v[86:87], v[112:113], s[8:9], v[86:87]
	v_add_f64 v[84:85], v[84:85], v[94:95]
	v_fma_f64 v[92:93], v[96:97], s[2:3], v[88:89]
	v_fma_f64 v[88:89], v[96:97], s[2:3], v[86:87]
	v_add_f64 v[86:87], v[90:91], v[108:109]
	v_add_f64 v[84:85], v[84:85], v[106:107]
	v_add_f64 v[96:97], v[94:95], -v[90:91]
	v_add_f64 v[106:107], v[94:95], -v[106:107]
	;; [unrolled: 1-line block ×3, first 2 shown]
	v_fma_f64 v[0:1], v[86:87], -0.5, v[0:1]
	v_add_f64 v[84:85], v[84:85], v[108:109]
	v_add_f64 v[108:109], v[90:91], -v[108:109]
	v_add_f64 v[114:115], v[96:97], v[114:115]
	v_fma_f64 v[86:87], v[112:113], s[6:7], v[0:1]
	v_fma_f64 v[0:1], v[112:113], s[14:15], v[0:1]
	v_add_f64 v[112:113], v[104:105], -v[102:103]
	v_fma_f64 v[86:87], v[110:111], s[4:5], v[86:87]
	v_fma_f64 v[0:1], v[110:111], s[8:9], v[0:1]
	v_add_f64 v[110:111], v[100:101], v[102:103]
	v_add_f64 v[112:113], v[94:95], v[112:113]
	v_fma_f64 v[96:97], v[114:115], s[2:3], v[86:87]
	v_add_f64 v[86:87], v[2:3], v[98:99]
	v_fma_f64 v[110:111], v[110:111], -0.5, v[2:3]
	v_fma_f64 v[0:1], v[114:115], s[2:3], v[0:1]
	v_add_f64 v[86:87], v[86:87], v[100:101]
	v_fma_f64 v[90:91], v[108:109], s[6:7], v[110:111]
	v_add_f64 v[86:87], v[86:87], v[102:103]
	;; [unrolled: 2-line block ×3, first 2 shown]
	v_fma_f64 v[94:95], v[112:113], s[2:3], v[90:91]
	v_fma_f64 v[90:91], v[108:109], s[14:15], v[110:111]
	v_add_f64 v[110:111], v[98:99], v[104:105]
	v_add_f64 v[98:99], v[100:101], -v[98:99]
	v_add_f64 v[100:101], v[102:103], -v[104:105]
	v_fma_f64 v[90:91], v[106:107], s[4:5], v[90:91]
	v_fma_f64 v[2:3], v[110:111], -0.5, v[2:3]
	v_add_f64 v[100:101], v[98:99], v[100:101]
	v_fma_f64 v[90:91], v[112:113], s[2:3], v[90:91]
	v_fma_f64 v[110:111], v[106:107], s[14:15], v[2:3]
	;; [unrolled: 1-line block ×7, first 2 shown]
	s_waitcnt vmcnt(0)
	ds_write_b128 v4, v[84:87] offset:40000
	ds_write_b128 v4, v[92:95] offset:42000
	ds_write_b128 v4, v[96:99] offset:44000
	ds_write_b128 v4, v[0:3] offset:46000
	ds_write_b128 v4, v[88:91] offset:48000
	s_waitcnt lgkmcnt(0)
	s_barrier
	buffer_gl0_inv
	ds_read_b128 v[20:23], v118
	ds_read_b128 v[4:7], v118 offset:10000
	ds_read_b128 v[8:11], v118 offset:20000
	ds_read_b128 v[12:15], v118 offset:30000
	ds_read_b128 v[36:39], v118 offset:40000
	ds_read_b128 v[44:47], v118 offset:2000
	ds_read_b128 v[40:43], v118 offset:12000
	ds_read_b128 v[52:55], v118 offset:22000
	ds_read_b128 v[56:59], v118 offset:32000
	ds_read_b128 v[66:69], v118 offset:42000
	ds_read_b128 v[32:35], v118 offset:4000
	ds_read_b128 v[70:73], v118 offset:14000
	ds_read_b128 v[74:77], v118 offset:24000
	ds_read_b128 v[78:81], v118 offset:34000
	ds_read_b128 v[82:85], v118 offset:44000
	ds_read_b128 v[16:19], v118 offset:6000
	ds_read_b128 v[86:89], v118 offset:16000
	ds_read_b128 v[90:93], v118 offset:26000
	ds_read_b128 v[94:97], v118 offset:36000
	ds_read_b128 v[98:101], v118 offset:46000
	ds_read_b128 v[0:3], v118 offset:8000
	ds_read_b128 v[102:105], v118 offset:18000
	ds_read_b128 v[110:113], v118 offset:28000
	ds_read_b128 v[114:117], v118 offset:38000
	ds_read_b128 v[119:122], v118 offset:48000
	s_clause 0x7
	buffer_load_dword v26, off, s[20:23], 0 offset:920
	buffer_load_dword v27, off, s[20:23], 0 offset:924
	;; [unrolled: 1-line block ×8, first 2 shown]
	s_waitcnt vmcnt(4) lgkmcnt(23)
	v_mul_f64 v[24:25], v[28:29], v[6:7]
	v_fma_f64 v[30:31], v[26:27], v[4:5], v[24:25]
	v_mul_f64 v[4:5], v[28:29], v[4:5]
	v_fma_f64 v[26:27], v[26:27], v[6:7], -v[4:5]
	s_waitcnt vmcnt(0) lgkmcnt(22)
	v_mul_f64 v[4:5], v[62:63], v[10:11]
	v_fma_f64 v[48:49], v[60:61], v[8:9], v[4:5]
	v_mul_f64 v[4:5], v[62:63], v[8:9]
	s_clause 0x3
	buffer_load_dword v6, off, s[20:23], 0 offset:936
	buffer_load_dword v7, off, s[20:23], 0 offset:940
	;; [unrolled: 1-line block ×4, first 2 shown]
	v_fma_f64 v[28:29], v[60:61], v[10:11], -v[4:5]
	s_waitcnt vmcnt(0) lgkmcnt(21)
	v_mul_f64 v[4:5], v[8:9], v[14:15]
	v_fma_f64 v[10:11], v[6:7], v[12:13], v[4:5]
	v_mul_f64 v[4:5], v[8:9], v[12:13]
	v_add_f64 v[12:13], v[30:31], -v[48:49]
	v_fma_f64 v[123:124], v[6:7], v[14:15], -v[4:5]
	s_clause 0x3
	buffer_load_dword v6, off, s[20:23], 0 offset:904
	buffer_load_dword v7, off, s[20:23], 0 offset:908
	;; [unrolled: 1-line block ×4, first 2 shown]
	s_waitcnt vmcnt(0) lgkmcnt(20)
	v_mul_f64 v[4:5], v[8:9], v[38:39]
	v_fma_f64 v[14:15], v[6:7], v[36:37], v[4:5]
	v_mul_f64 v[4:5], v[8:9], v[36:37]
	v_add_f64 v[24:25], v[14:15], -v[10:11]
	v_fma_f64 v[36:37], v[6:7], v[38:39], -v[4:5]
	s_clause 0x3
	buffer_load_dword v6, off, s[20:23], 0 offset:1148
	buffer_load_dword v7, off, s[20:23], 0 offset:1152
	;; [unrolled: 1-line block ×4, first 2 shown]
	v_add_f64 v[24:25], v[12:13], v[24:25]
	s_waitcnt vmcnt(0) lgkmcnt(18)
	v_mul_f64 v[4:5], v[8:9], v[42:43]
	v_fma_f64 v[38:39], v[6:7], v[40:41], v[4:5]
	v_mul_f64 v[4:5], v[8:9], v[40:41]
	v_add_f64 v[40:41], v[26:27], -v[36:37]
	v_fma_f64 v[50:51], v[6:7], v[42:43], -v[4:5]
	s_clause 0x3
	buffer_load_dword v6, off, s[20:23], 0 offset:1116
	buffer_load_dword v7, off, s[20:23], 0 offset:1120
	buffer_load_dword v8, off, s[20:23], 0 offset:1124
	buffer_load_dword v9, off, s[20:23], 0 offset:1128
	s_waitcnt vmcnt(0) lgkmcnt(17)
	v_mul_f64 v[4:5], v[8:9], v[54:55]
	v_fma_f64 v[42:43], v[6:7], v[52:53], v[4:5]
	v_mul_f64 v[4:5], v[8:9], v[52:53]
	v_fma_f64 v[52:53], v[6:7], v[54:55], -v[4:5]
	s_clause 0x3
	buffer_load_dword v6, off, s[20:23], 0 offset:1068
	buffer_load_dword v7, off, s[20:23], 0 offset:1072
	buffer_load_dword v8, off, s[20:23], 0 offset:1076
	buffer_load_dword v9, off, s[20:23], 0 offset:1080
	s_waitcnt vmcnt(0) lgkmcnt(16)
	v_mul_f64 v[4:5], v[8:9], v[58:59]
	v_fma_f64 v[60:61], v[6:7], v[56:57], v[4:5]
	v_mul_f64 v[4:5], v[8:9], v[56:57]
	;; [unrolled: 10-line block ×3, first 2 shown]
	v_fma_f64 v[56:57], v[6:7], v[68:69], -v[4:5]
	s_clause 0x3
	buffer_load_dword v6, off, s[20:23], 0 offset:1180
	buffer_load_dword v7, off, s[20:23], 0 offset:1184
	;; [unrolled: 1-line block ×4, first 2 shown]
	s_waitcnt lgkmcnt(13)
	v_mul_f64 v[4:5], v[238:239], v[72:73]
	v_fma_f64 v[58:59], v[236:237], v[70:71], v[4:5]
	v_mul_f64 v[4:5], v[238:239], v[70:71]
	v_fma_f64 v[66:67], v[236:237], v[72:73], -v[4:5]
	s_waitcnt lgkmcnt(12)
	v_mul_f64 v[4:5], v[254:255], v[76:77]
	v_fma_f64 v[62:63], v[252:253], v[74:75], v[4:5]
	v_mul_f64 v[4:5], v[254:255], v[74:75]
	v_fma_f64 v[68:69], v[252:253], v[76:77], -v[4:5]
	s_waitcnt vmcnt(0) lgkmcnt(11)
	v_mul_f64 v[4:5], v[8:9], v[80:81]
	v_fma_f64 v[76:77], v[6:7], v[78:79], v[4:5]
	v_mul_f64 v[4:5], v[8:9], v[78:79]
	v_fma_f64 v[72:73], v[6:7], v[80:81], -v[4:5]
	s_clause 0x3
	buffer_load_dword v6, off, s[20:23], 0 offset:1164
	buffer_load_dword v7, off, s[20:23], 0 offset:1168
	;; [unrolled: 1-line block ×4, first 2 shown]
	s_waitcnt vmcnt(0) lgkmcnt(10)
	v_mul_f64 v[4:5], v[8:9], v[84:85]
	v_fma_f64 v[80:81], v[6:7], v[82:83], v[4:5]
	v_mul_f64 v[4:5], v[8:9], v[82:83]
	v_fma_f64 v[74:75], v[6:7], v[84:85], -v[4:5]
	s_waitcnt lgkmcnt(8)
	v_mul_f64 v[4:5], v[206:207], v[88:89]
	v_add_f64 v[6:7], v[48:49], v[10:11]
	v_fma_f64 v[70:71], v[204:205], v[86:87], v[4:5]
	v_mul_f64 v[4:5], v[206:207], v[86:87]
	v_fma_f64 v[6:7], v[6:7], -0.5, v[20:21]
	v_fma_f64 v[82:83], v[204:205], v[88:89], -v[4:5]
	s_waitcnt lgkmcnt(7)
	v_mul_f64 v[4:5], v[214:215], v[92:93]
	v_fma_f64 v[8:9], v[40:41], s[14:15], v[6:7]
	v_fma_f64 v[6:7], v[40:41], s[6:7], v[6:7]
	;; [unrolled: 1-line block ×3, first 2 shown]
	v_mul_f64 v[4:5], v[214:215], v[90:91]
	v_fma_f64 v[84:85], v[212:213], v[92:93], -v[4:5]
	s_waitcnt lgkmcnt(6)
	v_mul_f64 v[4:5], v[218:219], v[96:97]
	v_fma_f64 v[92:93], v[216:217], v[94:95], v[4:5]
	v_mul_f64 v[4:5], v[218:219], v[94:95]
	v_fma_f64 v[86:87], v[216:217], v[96:97], -v[4:5]
	s_waitcnt lgkmcnt(5)
	v_mul_f64 v[4:5], v[222:223], v[100:101]
	v_fma_f64 v[108:109], v[220:221], v[98:99], v[4:5]
	;; [unrolled: 5-line block ×4, first 2 shown]
	v_mul_f64 v[4:5], v[174:175], v[110:111]
	v_add_f64 v[110:111], v[28:29], -v[123:124]
	v_fma_f64 v[98:99], v[172:173], v[112:113], -v[4:5]
	s_waitcnt lgkmcnt(1)
	v_mul_f64 v[4:5], v[178:179], v[116:117]
	v_fma_f64 v[8:9], v[110:111], s[4:5], v[8:9]
	v_fma_f64 v[6:7], v[110:111], s[8:9], v[6:7]
	v_add_f64 v[112:113], v[10:11], -v[14:15]
	v_fma_f64 v[104:105], v[176:177], v[114:115], v[4:5]
	v_mul_f64 v[4:5], v[178:179], v[114:115]
	v_fma_f64 v[12:13], v[24:25], s[2:3], v[8:9]
	v_fma_f64 v[8:9], v[24:25], s[2:3], v[6:7]
	v_add_f64 v[6:7], v[30:31], v[14:15]
	v_add_f64 v[24:25], v[48:49], -v[30:31]
	v_add_f64 v[114:115], v[60:61], -v[64:65]
	v_fma_f64 v[100:101], v[176:177], v[116:117], -v[4:5]
	s_waitcnt lgkmcnt(0)
	v_mul_f64 v[4:5], v[182:183], v[121:122]
	v_fma_f64 v[6:7], v[6:7], -0.5, v[20:21]
	v_add_f64 v[112:113], v[24:25], v[112:113]
	v_fma_f64 v[106:107], v[180:181], v[119:120], v[4:5]
	v_mul_f64 v[4:5], v[182:183], v[119:120]
	v_fma_f64 v[102:103], v[180:181], v[121:122], -v[4:5]
	v_add_f64 v[4:5], v[20:21], v[30:31]
	v_fma_f64 v[20:21], v[110:111], s[6:7], v[6:7]
	v_fma_f64 v[6:7], v[110:111], s[14:15], v[6:7]
	v_add_f64 v[30:31], v[30:31], -v[14:15]
	v_add_f64 v[110:111], v[36:37], -v[123:124]
	v_add_f64 v[4:5], v[4:5], v[48:49]
	v_fma_f64 v[20:21], v[40:41], s[4:5], v[20:21]
	v_fma_f64 v[6:7], v[40:41], s[8:9], v[6:7]
	v_add_f64 v[40:41], v[28:29], v[123:124]
	v_add_f64 v[48:49], v[48:49], -v[10:11]
	v_add_f64 v[4:5], v[4:5], v[10:11]
	v_fma_f64 v[24:25], v[112:113], s[2:3], v[20:21]
	v_fma_f64 v[20:21], v[112:113], s[2:3], v[6:7]
	v_fma_f64 v[40:41], v[40:41], -0.5, v[22:23]
	v_add_f64 v[6:7], v[22:23], v[26:27]
	v_add_f64 v[112:113], v[52:53], -v[54:55]
	v_add_f64 v[4:5], v[4:5], v[14:15]
	v_fma_f64 v[14:15], v[30:31], s[6:7], v[40:41]
	v_add_f64 v[6:7], v[6:7], v[28:29]
	v_fma_f64 v[10:11], v[48:49], s[8:9], v[14:15]
	v_add_f64 v[14:15], v[26:27], -v[28:29]
	v_add_f64 v[6:7], v[6:7], v[123:124]
	v_add_f64 v[110:111], v[14:15], v[110:111]
	;; [unrolled: 1-line block ×3, first 2 shown]
	v_fma_f64 v[14:15], v[110:111], s[2:3], v[10:11]
	v_fma_f64 v[10:11], v[30:31], s[14:15], v[40:41]
	v_add_f64 v[40:41], v[26:27], v[36:37]
	v_add_f64 v[26:27], v[28:29], -v[26:27]
	v_add_f64 v[28:29], v[123:124], -v[36:37]
	v_fma_f64 v[10:11], v[48:49], s[4:5], v[10:11]
	v_fma_f64 v[22:23], v[40:41], -0.5, v[22:23]
	v_add_f64 v[28:29], v[26:27], v[28:29]
	v_fma_f64 v[10:11], v[110:111], s[2:3], v[10:11]
	v_fma_f64 v[40:41], v[48:49], s[14:15], v[22:23]
	;; [unrolled: 1-line block ×3, first 2 shown]
	v_add_f64 v[110:111], v[50:51], -v[56:57]
	v_add_f64 v[48:49], v[64:65], -v[60:61]
	v_fma_f64 v[40:41], v[30:31], s[8:9], v[40:41]
	v_fma_f64 v[22:23], v[30:31], s[4:5], v[22:23]
	v_add_f64 v[30:31], v[42:43], v[60:61]
	v_fma_f64 v[26:27], v[28:29], s[2:3], v[40:41]
	v_add_f64 v[40:41], v[38:39], -v[42:43]
	v_fma_f64 v[30:31], v[30:31], -0.5, v[44:45]
	v_fma_f64 v[22:23], v[28:29], s[2:3], v[22:23]
	v_add_f64 v[28:29], v[44:45], v[38:39]
	v_add_f64 v[48:49], v[40:41], v[48:49]
	v_fma_f64 v[36:37], v[110:111], s[14:15], v[30:31]
	v_fma_f64 v[30:31], v[110:111], s[6:7], v[30:31]
	v_add_f64 v[28:29], v[28:29], v[42:43]
	v_fma_f64 v[36:37], v[112:113], s[4:5], v[36:37]
	v_fma_f64 v[30:31], v[112:113], s[8:9], v[30:31]
	v_add_f64 v[28:29], v[28:29], v[60:61]
	v_add_f64 v[60:61], v[42:43], -v[60:61]
	v_fma_f64 v[40:41], v[48:49], s[2:3], v[36:37]
	v_fma_f64 v[36:37], v[48:49], s[2:3], v[30:31]
	v_add_f64 v[30:31], v[38:39], v[64:65]
	v_add_f64 v[28:29], v[28:29], v[64:65]
	v_add_f64 v[64:65], v[38:39], -v[64:65]
	v_add_f64 v[48:49], v[42:43], -v[38:39]
	;; [unrolled: 1-line block ×3, first 2 shown]
	v_fma_f64 v[30:31], v[30:31], -0.5, v[44:45]
	v_add_f64 v[114:115], v[48:49], v[114:115]
	v_fma_f64 v[44:45], v[112:113], s[6:7], v[30:31]
	v_fma_f64 v[30:31], v[112:113], s[14:15], v[30:31]
	v_add_f64 v[112:113], v[56:57], -v[54:55]
	v_fma_f64 v[44:45], v[110:111], s[4:5], v[44:45]
	v_fma_f64 v[30:31], v[110:111], s[8:9], v[30:31]
	v_add_f64 v[110:111], v[52:53], v[54:55]
	v_add_f64 v[112:113], v[42:43], v[112:113]
	v_fma_f64 v[48:49], v[114:115], s[2:3], v[44:45]
	v_fma_f64 v[44:45], v[114:115], s[2:3], v[30:31]
	v_fma_f64 v[110:111], v[110:111], -0.5, v[46:47]
	v_add_f64 v[30:31], v[46:47], v[50:51]
	v_add_f64 v[114:115], v[76:77], -v[80:81]
	v_fma_f64 v[38:39], v[64:65], s[6:7], v[110:111]
	v_add_f64 v[30:31], v[30:31], v[52:53]
	v_fma_f64 v[38:39], v[60:61], s[8:9], v[38:39]
	v_add_f64 v[30:31], v[30:31], v[54:55]
	v_fma_f64 v[42:43], v[112:113], s[2:3], v[38:39]
	v_fma_f64 v[38:39], v[64:65], s[14:15], v[110:111]
	v_add_f64 v[110:111], v[50:51], v[56:57]
	v_add_f64 v[50:51], v[52:53], -v[50:51]
	v_add_f64 v[52:53], v[54:55], -v[56:57]
	v_add_f64 v[54:55], v[62:63], v[76:77]
	v_add_f64 v[30:31], v[30:31], v[56:57]
	v_fma_f64 v[38:39], v[60:61], s[4:5], v[38:39]
	v_fma_f64 v[46:47], v[110:111], -0.5, v[46:47]
	v_add_f64 v[52:53], v[50:51], v[52:53]
	v_fma_f64 v[54:55], v[54:55], -0.5, v[32:33]
	v_fma_f64 v[38:39], v[112:113], s[2:3], v[38:39]
	v_fma_f64 v[110:111], v[60:61], s[14:15], v[46:47]
	;; [unrolled: 1-line block ×3, first 2 shown]
	v_add_f64 v[112:113], v[68:69], -v[72:73]
	v_add_f64 v[60:61], v[58:59], -v[62:63]
	v_fma_f64 v[110:111], v[64:65], s[8:9], v[110:111]
	v_fma_f64 v[46:47], v[64:65], s[4:5], v[46:47]
	v_add_f64 v[64:65], v[80:81], -v[76:77]
	v_fma_f64 v[50:51], v[52:53], s[2:3], v[110:111]
	v_add_f64 v[110:111], v[66:67], -v[74:75]
	v_add_f64 v[64:65], v[60:61], v[64:65]
	v_fma_f64 v[46:47], v[52:53], s[2:3], v[46:47]
	v_add_f64 v[52:53], v[32:33], v[58:59]
	v_fma_f64 v[56:57], v[110:111], s[14:15], v[54:55]
	v_fma_f64 v[54:55], v[110:111], s[6:7], v[54:55]
	v_add_f64 v[52:53], v[52:53], v[62:63]
	v_fma_f64 v[56:57], v[112:113], s[4:5], v[56:57]
	v_fma_f64 v[54:55], v[112:113], s[8:9], v[54:55]
	v_add_f64 v[52:53], v[52:53], v[76:77]
	v_add_f64 v[76:77], v[62:63], -v[76:77]
	v_fma_f64 v[60:61], v[64:65], s[2:3], v[56:57]
	v_fma_f64 v[56:57], v[64:65], s[2:3], v[54:55]
	v_add_f64 v[54:55], v[58:59], v[80:81]
	v_add_f64 v[52:53], v[52:53], v[80:81]
	v_add_f64 v[80:81], v[58:59], -v[80:81]
	v_add_f64 v[64:65], v[62:63], -v[58:59]
	;; [unrolled: 1-line block ×3, first 2 shown]
	v_fma_f64 v[32:33], v[54:55], -0.5, v[32:33]
	v_add_f64 v[114:115], v[64:65], v[114:115]
	v_fma_f64 v[54:55], v[112:113], s[6:7], v[32:33]
	v_fma_f64 v[32:33], v[112:113], s[14:15], v[32:33]
	v_add_f64 v[112:113], v[74:75], -v[72:73]
	v_fma_f64 v[54:55], v[110:111], s[4:5], v[54:55]
	v_fma_f64 v[32:33], v[110:111], s[8:9], v[32:33]
	v_add_f64 v[110:111], v[68:69], v[72:73]
	v_add_f64 v[112:113], v[62:63], v[112:113]
	v_fma_f64 v[64:65], v[114:115], s[2:3], v[54:55]
	v_add_f64 v[54:55], v[34:35], v[66:67]
	v_fma_f64 v[110:111], v[110:111], -0.5, v[34:35]
	v_fma_f64 v[32:33], v[114:115], s[2:3], v[32:33]
	v_add_f64 v[114:115], v[92:93], -v[108:109]
	v_add_f64 v[54:55], v[54:55], v[68:69]
	v_fma_f64 v[58:59], v[80:81], s[6:7], v[110:111]
	v_add_f64 v[54:55], v[54:55], v[72:73]
	v_fma_f64 v[58:59], v[76:77], s[8:9], v[58:59]
	;; [unrolled: 2-line block ×3, first 2 shown]
	v_fma_f64 v[58:59], v[80:81], s[14:15], v[110:111]
	v_add_f64 v[110:111], v[66:67], v[74:75]
	v_add_f64 v[66:67], v[68:69], -v[66:67]
	v_add_f64 v[68:69], v[72:73], -v[74:75]
	;; [unrolled: 1-line block ×3, first 2 shown]
	v_fma_f64 v[58:59], v[76:77], s[4:5], v[58:59]
	v_fma_f64 v[34:35], v[110:111], -0.5, v[34:35]
	v_add_f64 v[68:69], v[66:67], v[68:69]
	v_fma_f64 v[58:59], v[112:113], s[2:3], v[58:59]
	v_fma_f64 v[110:111], v[76:77], s[14:15], v[34:35]
	;; [unrolled: 1-line block ×3, first 2 shown]
	v_add_f64 v[112:113], v[108:109], -v[92:93]
	v_fma_f64 v[110:111], v[80:81], s[8:9], v[110:111]
	v_fma_f64 v[34:35], v[80:81], s[4:5], v[34:35]
	v_add_f64 v[80:81], v[70:71], -v[78:79]
	v_fma_f64 v[66:67], v[68:69], s[2:3], v[110:111]
	v_fma_f64 v[34:35], v[68:69], s[2:3], v[34:35]
	v_add_f64 v[68:69], v[16:17], v[70:71]
	v_add_f64 v[110:111], v[84:85], -v[86:87]
	v_add_f64 v[80:81], v[80:81], v[112:113]
	v_add_f64 v[112:113], v[78:79], -v[70:71]
	v_add_f64 v[68:69], v[68:69], v[78:79]
	v_add_f64 v[112:113], v[112:113], v[114:115]
	v_add_f64 v[114:115], v[104:105], -v[106:107]
	v_add_f64 v[68:69], v[68:69], v[92:93]
	v_add_f64 v[72:73], v[68:69], v[108:109]
	;; [unrolled: 1-line block ×3, first 2 shown]
	v_add_f64 v[92:93], v[78:79], -v[92:93]
	v_add_f64 v[78:79], v[82:83], -v[84:85]
	v_fma_f64 v[68:69], v[68:69], -0.5, v[16:17]
	v_fma_f64 v[76:77], v[74:75], s[14:15], v[68:69]
	v_fma_f64 v[68:69], v[74:75], s[6:7], v[68:69]
	;; [unrolled: 1-line block ×6, first 2 shown]
	v_add_f64 v[80:81], v[70:71], v[108:109]
	v_add_f64 v[108:109], v[70:71], -v[108:109]
	v_fma_f64 v[16:17], v[80:81], -0.5, v[16:17]
	v_fma_f64 v[80:81], v[110:111], s[6:7], v[16:17]
	v_fma_f64 v[16:17], v[110:111], s[14:15], v[16:17]
	v_add_f64 v[110:111], v[84:85], v[86:87]
	v_fma_f64 v[80:81], v[74:75], s[4:5], v[80:81]
	v_fma_f64 v[16:17], v[74:75], s[8:9], v[16:17]
	v_fma_f64 v[110:111], v[110:111], -0.5, v[18:19]
	v_add_f64 v[74:75], v[18:19], v[82:83]
	v_fma_f64 v[80:81], v[112:113], s[2:3], v[80:81]
	v_fma_f64 v[16:17], v[112:113], s[2:3], v[16:17]
	;; [unrolled: 1-line block ×3, first 2 shown]
	v_add_f64 v[112:113], v[88:89], -v[86:87]
	v_add_f64 v[74:75], v[74:75], v[84:85]
	v_fma_f64 v[70:71], v[92:93], s[8:9], v[70:71]
	v_add_f64 v[112:113], v[78:79], v[112:113]
	v_add_f64 v[74:75], v[74:75], v[86:87]
	v_fma_f64 v[78:79], v[112:113], s[2:3], v[70:71]
	v_fma_f64 v[70:71], v[108:109], s[14:15], v[110:111]
	v_add_f64 v[110:111], v[82:83], v[88:89]
	v_add_f64 v[82:83], v[84:85], -v[82:83]
	v_add_f64 v[84:85], v[86:87], -v[88:89]
	v_add_f64 v[86:87], v[94:95], v[104:105]
	v_add_f64 v[74:75], v[74:75], v[88:89]
	v_fma_f64 v[70:71], v[92:93], s[4:5], v[70:71]
	v_fma_f64 v[18:19], v[110:111], -0.5, v[18:19]
	v_add_f64 v[84:85], v[82:83], v[84:85]
	v_fma_f64 v[86:87], v[86:87], -0.5, v[0:1]
	v_fma_f64 v[70:71], v[112:113], s[2:3], v[70:71]
	v_fma_f64 v[110:111], v[92:93], s[14:15], v[18:19]
	v_fma_f64 v[18:19], v[92:93], s[6:7], v[18:19]
	v_add_f64 v[92:93], v[90:91], -v[94:95]
	v_add_f64 v[112:113], v[106:107], -v[104:105]
	v_fma_f64 v[110:111], v[108:109], s[8:9], v[110:111]
	v_fma_f64 v[18:19], v[108:109], s[4:5], v[18:19]
	v_add_f64 v[108:109], v[96:97], -v[102:103]
	v_add_f64 v[112:113], v[92:93], v[112:113]
	v_fma_f64 v[82:83], v[84:85], s[2:3], v[110:111]
	v_add_f64 v[110:111], v[98:99], -v[100:101]
	v_fma_f64 v[88:89], v[108:109], s[14:15], v[86:87]
	v_fma_f64 v[86:87], v[108:109], s[6:7], v[86:87]
	;; [unrolled: 1-line block ×3, first 2 shown]
	v_add_f64 v[84:85], v[0:1], v[90:91]
	v_fma_f64 v[88:89], v[110:111], s[4:5], v[88:89]
	v_fma_f64 v[86:87], v[110:111], s[8:9], v[86:87]
	v_add_f64 v[84:85], v[84:85], v[94:95]
	v_fma_f64 v[92:93], v[112:113], s[2:3], v[88:89]
	v_fma_f64 v[88:89], v[112:113], s[2:3], v[86:87]
	v_add_f64 v[86:87], v[90:91], v[106:107]
	v_add_f64 v[84:85], v[84:85], v[104:105]
	v_add_f64 v[112:113], v[94:95], -v[90:91]
	v_add_f64 v[104:105], v[94:95], -v[104:105]
	;; [unrolled: 1-line block ×3, first 2 shown]
	v_fma_f64 v[86:87], v[86:87], -0.5, v[0:1]
	v_add_f64 v[84:85], v[84:85], v[106:107]
	v_add_f64 v[112:113], v[112:113], v[114:115]
	v_add_f64 v[106:107], v[90:91], -v[106:107]
	v_fma_f64 v[0:1], v[110:111], s[6:7], v[86:87]
	v_fma_f64 v[86:87], v[110:111], s[14:15], v[86:87]
	v_add_f64 v[110:111], v[98:99], v[100:101]
	v_fma_f64 v[0:1], v[108:109], s[4:5], v[0:1]
	v_fma_f64 v[86:87], v[108:109], s[8:9], v[86:87]
	v_fma_f64 v[110:111], v[110:111], -0.5, v[2:3]
	v_fma_f64 v[0:1], v[112:113], s[2:3], v[0:1]
	v_fma_f64 v[108:109], v[112:113], s[2:3], v[86:87]
	;; [unrolled: 1-line block ×3, first 2 shown]
	v_add_f64 v[112:113], v[102:103], -v[100:101]
	v_add_f64 v[86:87], v[2:3], v[96:97]
	v_fma_f64 v[90:91], v[104:105], s[8:9], v[90:91]
	v_add_f64 v[112:113], v[94:95], v[112:113]
	v_add_f64 v[86:87], v[86:87], v[98:99]
	v_fma_f64 v[94:95], v[112:113], s[2:3], v[90:91]
	v_fma_f64 v[90:91], v[106:107], s[14:15], v[110:111]
	v_add_f64 v[110:111], v[96:97], v[102:103]
	v_add_f64 v[96:97], v[98:99], -v[96:97]
	v_add_f64 v[98:99], v[100:101], -v[102:103]
	v_add_f64 v[86:87], v[86:87], v[100:101]
	v_fma_f64 v[90:91], v[104:105], s[4:5], v[90:91]
	v_fma_f64 v[110:111], v[110:111], -0.5, v[2:3]
	v_add_f64 v[96:97], v[96:97], v[98:99]
	v_add_f64 v[86:87], v[86:87], v[102:103]
	v_fma_f64 v[90:91], v[112:113], s[2:3], v[90:91]
	v_fma_f64 v[2:3], v[104:105], s[14:15], v[110:111]
	;; [unrolled: 1-line block ×3, first 2 shown]
	s_mul_hi_u32 s6, s0, 0xffff6b90
	s_sub_i32 s6, s6, s0
	v_fma_f64 v[2:3], v[106:107], s[8:9], v[2:3]
	v_fma_f64 v[98:99], v[106:107], s[4:5], v[98:99]
	s_mul_i32 s4, s1, 0x2710
	s_mul_hi_u32 s5, s0, 0x2710
	s_add_i32 s4, s5, s4
	s_mul_i32 s5, s0, 0x2710
	v_fma_f64 v[2:3], v[96:97], s[2:3], v[2:3]
	v_fma_f64 v[110:111], v[96:97], s[2:3], v[98:99]
	ds_write_b128 v118, v[4:7]
	ds_write_b128 v118, v[12:15] offset:10000
	ds_write_b128 v118, v[24:27] offset:20000
	;; [unrolled: 1-line block ×24, first 2 shown]
	s_waitcnt lgkmcnt(0)
	s_barrier
	buffer_gl0_inv
	ds_read_b128 v[0:3], v118
	s_clause 0x3
	buffer_load_dword v6, off, s[20:23], 0 offset:88
	buffer_load_dword v7, off, s[20:23], 0 offset:92
	;; [unrolled: 1-line block ×4, first 2 shown]
	s_mov_b32 s2, 0x88e368f1
	s_mov_b32 s3, 0x3f34f8b5
	s_waitcnt vmcnt(0) lgkmcnt(0)
	v_mul_f64 v[4:5], v[8:9], v[2:3]
	v_fma_f64 v[4:5], v[6:7], v[0:1], v[4:5]
	v_mul_f64 v[0:1], v[8:9], v[0:1]
	v_mul_f64 v[4:5], v[4:5], s[2:3]
	v_fma_f64 v[0:1], v[6:7], v[2:3], -v[0:1]
	buffer_load_dword v2, off, s[20:23], 0 offset:408 ; 4-byte Folded Reload
	v_mul_f64 v[6:7], v[0:1], s[2:3]
	s_waitcnt vmcnt(0)
	v_mad_u64_u32 v[0:1], null, s0, v2, 0
	s_mul_i32 s0, s0, 0xffff6b90
	v_mad_u64_u32 v[1:2], null, s1, v2, v[1:2]
	s_clause 0x1
	buffer_load_dword v2, off, s[20:23], 0
	buffer_load_dword v3, off, s[20:23], 0 offset:4
	s_mul_i32 s1, s1, 0xffff6b90
	s_add_i32 s1, s6, s1
	v_lshlrev_b64 v[0:1], 4, v[0:1]
	s_waitcnt vmcnt(0)
	v_lshlrev_b64 v[2:3], 4, v[2:3]
	v_add_co_u32 v2, vcc_lo, s12, v2
	v_add_co_ci_u32_e32 v3, vcc_lo, s13, v3, vcc_lo
	v_add_co_u32 v8, vcc_lo, v2, v0
	v_add_co_ci_u32_e32 v9, vcc_lo, v3, v1, vcc_lo
	ds_read_b128 v[0:3], v118 offset:10000
	global_store_dwordx4 v[8:9], v[4:7], off
	s_clause 0x3
	buffer_load_dword v10, off, s[20:23], 0 offset:56
	buffer_load_dword v11, off, s[20:23], 0 offset:60
	buffer_load_dword v12, off, s[20:23], 0 offset:64
	buffer_load_dword v13, off, s[20:23], 0 offset:68
	v_add_co_u32 v8, vcc_lo, v8, s5
	v_add_co_ci_u32_e32 v9, vcc_lo, s4, v9, vcc_lo
	s_waitcnt vmcnt(0) lgkmcnt(0)
	v_mul_f64 v[4:5], v[12:13], v[2:3]
	v_fma_f64 v[4:5], v[10:11], v[0:1], v[4:5]
	v_mul_f64 v[0:1], v[12:13], v[0:1]
	v_mul_f64 v[4:5], v[4:5], s[2:3]
	v_fma_f64 v[0:1], v[10:11], v[2:3], -v[0:1]
	v_mul_f64 v[6:7], v[0:1], s[2:3]
	ds_read_b128 v[0:3], v118 offset:20000
	global_store_dwordx4 v[8:9], v[4:7], off
	s_clause 0x3
	buffer_load_dword v10, off, s[20:23], 0 offset:8
	buffer_load_dword v11, off, s[20:23], 0 offset:12
	buffer_load_dword v12, off, s[20:23], 0 offset:16
	buffer_load_dword v13, off, s[20:23], 0 offset:20
	v_add_co_u32 v8, vcc_lo, v8, s5
	v_add_co_ci_u32_e32 v9, vcc_lo, s4, v9, vcc_lo
	s_waitcnt vmcnt(0) lgkmcnt(0)
	v_mul_f64 v[4:5], v[12:13], v[2:3]
	v_fma_f64 v[4:5], v[10:11], v[0:1], v[4:5]
	v_mul_f64 v[0:1], v[12:13], v[0:1]
	v_mul_f64 v[4:5], v[4:5], s[2:3]
	v_fma_f64 v[0:1], v[10:11], v[2:3], -v[0:1]
	v_mul_f64 v[6:7], v[0:1], s[2:3]
	;; [unrolled: 16-line block ×18, first 2 shown]
	ds_read_b128 v[0:3], v118 offset:46000
	global_store_dwordx4 v[8:9], v[4:7], off
	s_clause 0x3
	buffer_load_dword v10, off, s[20:23], 0 offset:392
	buffer_load_dword v11, off, s[20:23], 0 offset:396
	;; [unrolled: 1-line block ×4, first 2 shown]
	s_waitcnt vmcnt(0) lgkmcnt(0)
	v_mul_f64 v[4:5], v[12:13], v[2:3]
	v_fma_f64 v[4:5], v[10:11], v[0:1], v[4:5]
	v_mul_f64 v[0:1], v[12:13], v[0:1]
	v_mul_f64 v[4:5], v[4:5], s[2:3]
	v_fma_f64 v[0:1], v[10:11], v[2:3], -v[0:1]
	v_mul_f64 v[6:7], v[0:1], s[2:3]
	v_add_co_u32 v0, vcc_lo, v8, s5
	v_add_co_ci_u32_e32 v1, vcc_lo, s4, v9, vcc_lo
	global_store_dwordx4 v[0:1], v[4:7], off
	ds_read_b128 v[2:5], v118 offset:8000
	s_clause 0x3
	buffer_load_dword v8, off, s[20:23], 0 offset:184
	buffer_load_dword v9, off, s[20:23], 0 offset:188
	;; [unrolled: 1-line block ×4, first 2 shown]
	s_waitcnt vmcnt(0) lgkmcnt(0)
	v_mul_f64 v[6:7], v[10:11], v[4:5]
	v_fma_f64 v[6:7], v[8:9], v[2:3], v[6:7]
	v_mul_f64 v[2:3], v[10:11], v[2:3]
	v_add_co_u32 v10, vcc_lo, v0, s0
	v_add_co_ci_u32_e32 v11, vcc_lo, s1, v1, vcc_lo
	v_mul_f64 v[6:7], v[6:7], s[2:3]
	v_fma_f64 v[2:3], v[8:9], v[4:5], -v[2:3]
	v_mul_f64 v[8:9], v[2:3], s[2:3]
	ds_read_b128 v[0:3], v118 offset:18000
	global_store_dwordx4 v[10:11], v[6:9], off
	s_clause 0x3
	buffer_load_dword v6, off, s[20:23], 0 offset:200
	buffer_load_dword v7, off, s[20:23], 0 offset:204
	;; [unrolled: 1-line block ×4, first 2 shown]
	s_waitcnt vmcnt(0) lgkmcnt(0)
	v_mul_f64 v[4:5], v[8:9], v[2:3]
	v_fma_f64 v[4:5], v[6:7], v[0:1], v[4:5]
	v_mul_f64 v[0:1], v[8:9], v[0:1]
	v_add_co_u32 v8, vcc_lo, v10, s5
	v_add_co_ci_u32_e32 v9, vcc_lo, s4, v11, vcc_lo
	v_mul_f64 v[4:5], v[4:5], s[2:3]
	v_fma_f64 v[0:1], v[6:7], v[2:3], -v[0:1]
	v_mul_f64 v[6:7], v[0:1], s[2:3]
	ds_read_b128 v[0:3], v118 offset:28000
	global_store_dwordx4 v[8:9], v[4:7], off
	s_clause 0x3
	buffer_load_dword v10, off, s[20:23], 0 offset:152
	buffer_load_dword v11, off, s[20:23], 0 offset:156
	;; [unrolled: 1-line block ×4, first 2 shown]
	v_add_co_u32 v8, vcc_lo, v8, s5
	v_add_co_ci_u32_e32 v9, vcc_lo, s4, v9, vcc_lo
	s_waitcnt vmcnt(0) lgkmcnt(0)
	v_mul_f64 v[4:5], v[12:13], v[2:3]
	v_fma_f64 v[4:5], v[10:11], v[0:1], v[4:5]
	v_mul_f64 v[0:1], v[12:13], v[0:1]
	v_mul_f64 v[4:5], v[4:5], s[2:3]
	v_fma_f64 v[0:1], v[10:11], v[2:3], -v[0:1]
	v_mul_f64 v[6:7], v[0:1], s[2:3]
	ds_read_b128 v[0:3], v118 offset:38000
	global_store_dwordx4 v[8:9], v[4:7], off
	s_clause 0x3
	buffer_load_dword v10, off, s[20:23], 0 offset:120
	buffer_load_dword v11, off, s[20:23], 0 offset:124
	;; [unrolled: 1-line block ×4, first 2 shown]
	s_waitcnt vmcnt(0) lgkmcnt(0)
	v_mul_f64 v[4:5], v[12:13], v[2:3]
	v_fma_f64 v[4:5], v[10:11], v[0:1], v[4:5]
	v_mul_f64 v[0:1], v[12:13], v[0:1]
	v_mul_f64 v[4:5], v[4:5], s[2:3]
	v_fma_f64 v[0:1], v[10:11], v[2:3], -v[0:1]
	v_mul_f64 v[6:7], v[0:1], s[2:3]
	v_add_co_u32 v0, vcc_lo, v8, s5
	v_add_co_ci_u32_e32 v1, vcc_lo, s4, v9, vcc_lo
	global_store_dwordx4 v[0:1], v[4:7], off
	ds_read_b128 v[2:5], v118 offset:48000
	s_clause 0x3
	buffer_load_dword v8, off, s[20:23], 0 offset:72
	buffer_load_dword v9, off, s[20:23], 0 offset:76
	buffer_load_dword v10, off, s[20:23], 0 offset:80
	buffer_load_dword v11, off, s[20:23], 0 offset:84
	v_add_co_u32 v0, vcc_lo, v0, s5
	v_add_co_ci_u32_e32 v1, vcc_lo, s4, v1, vcc_lo
	s_waitcnt vmcnt(0) lgkmcnt(0)
	v_mul_f64 v[6:7], v[10:11], v[4:5]
	v_fma_f64 v[6:7], v[8:9], v[2:3], v[6:7]
	v_mul_f64 v[2:3], v[10:11], v[2:3]
	v_mul_f64 v[6:7], v[6:7], s[2:3]
	v_fma_f64 v[2:3], v[8:9], v[4:5], -v[2:3]
	v_mul_f64 v[8:9], v[2:3], s[2:3]
	global_store_dwordx4 v[0:1], v[6:9], off
.LBB0_2:
	s_endpgm
	.section	.rodata,"a",@progbits
	.p2align	6, 0x0
	.amdhsa_kernel bluestein_single_back_len3125_dim1_dp_op_CI_CI
		.amdhsa_group_segment_fixed_size 50000
		.amdhsa_private_segment_fixed_size 1220
		.amdhsa_kernarg_size 104
		.amdhsa_user_sgpr_count 6
		.amdhsa_user_sgpr_private_segment_buffer 1
		.amdhsa_user_sgpr_dispatch_ptr 0
		.amdhsa_user_sgpr_queue_ptr 0
		.amdhsa_user_sgpr_kernarg_segment_ptr 1
		.amdhsa_user_sgpr_dispatch_id 0
		.amdhsa_user_sgpr_flat_scratch_init 0
		.amdhsa_user_sgpr_private_segment_size 0
		.amdhsa_wavefront_size32 1
		.amdhsa_uses_dynamic_stack 0
		.amdhsa_system_sgpr_private_segment_wavefront_offset 1
		.amdhsa_system_sgpr_workgroup_id_x 1
		.amdhsa_system_sgpr_workgroup_id_y 0
		.amdhsa_system_sgpr_workgroup_id_z 0
		.amdhsa_system_sgpr_workgroup_info 0
		.amdhsa_system_vgpr_workitem_id 0
		.amdhsa_next_free_vgpr 256
		.amdhsa_next_free_sgpr 24
		.amdhsa_reserve_vcc 1
		.amdhsa_reserve_flat_scratch 0
		.amdhsa_float_round_mode_32 0
		.amdhsa_float_round_mode_16_64 0
		.amdhsa_float_denorm_mode_32 3
		.amdhsa_float_denorm_mode_16_64 3
		.amdhsa_dx10_clamp 1
		.amdhsa_ieee_mode 1
		.amdhsa_fp16_overflow 0
		.amdhsa_workgroup_processor_mode 1
		.amdhsa_memory_ordered 1
		.amdhsa_forward_progress 0
		.amdhsa_shared_vgpr_count 0
		.amdhsa_exception_fp_ieee_invalid_op 0
		.amdhsa_exception_fp_denorm_src 0
		.amdhsa_exception_fp_ieee_div_zero 0
		.amdhsa_exception_fp_ieee_overflow 0
		.amdhsa_exception_fp_ieee_underflow 0
		.amdhsa_exception_fp_ieee_inexact 0
		.amdhsa_exception_int_div_zero 0
	.end_amdhsa_kernel
	.text
.Lfunc_end0:
	.size	bluestein_single_back_len3125_dim1_dp_op_CI_CI, .Lfunc_end0-bluestein_single_back_len3125_dim1_dp_op_CI_CI
                                        ; -- End function
	.section	.AMDGPU.csdata,"",@progbits
; Kernel info:
; codeLenInByte = 46524
; NumSgprs: 26
; NumVgprs: 256
; ScratchSize: 1220
; MemoryBound: 0
; FloatMode: 240
; IeeeMode: 1
; LDSByteSize: 50000 bytes/workgroup (compile time only)
; SGPRBlocks: 3
; VGPRBlocks: 31
; NumSGPRsForWavesPerEU: 26
; NumVGPRsForWavesPerEU: 256
; Occupancy: 2
; WaveLimiterHint : 1
; COMPUTE_PGM_RSRC2:SCRATCH_EN: 1
; COMPUTE_PGM_RSRC2:USER_SGPR: 6
; COMPUTE_PGM_RSRC2:TRAP_HANDLER: 0
; COMPUTE_PGM_RSRC2:TGID_X_EN: 1
; COMPUTE_PGM_RSRC2:TGID_Y_EN: 0
; COMPUTE_PGM_RSRC2:TGID_Z_EN: 0
; COMPUTE_PGM_RSRC2:TIDIG_COMP_CNT: 0
	.text
	.p2alignl 6, 3214868480
	.fill 48, 4, 3214868480
	.type	__hip_cuid_ea6d33494facf05b,@object ; @__hip_cuid_ea6d33494facf05b
	.section	.bss,"aw",@nobits
	.globl	__hip_cuid_ea6d33494facf05b
__hip_cuid_ea6d33494facf05b:
	.byte	0                               ; 0x0
	.size	__hip_cuid_ea6d33494facf05b, 1

	.ident	"AMD clang version 19.0.0git (https://github.com/RadeonOpenCompute/llvm-project roc-6.4.0 25133 c7fe45cf4b819c5991fe208aaa96edf142730f1d)"
	.section	".note.GNU-stack","",@progbits
	.addrsig
	.addrsig_sym __hip_cuid_ea6d33494facf05b
	.amdgpu_metadata
---
amdhsa.kernels:
  - .args:
      - .actual_access:  read_only
        .address_space:  global
        .offset:         0
        .size:           8
        .value_kind:     global_buffer
      - .actual_access:  read_only
        .address_space:  global
        .offset:         8
        .size:           8
        .value_kind:     global_buffer
      - .actual_access:  read_only
        .address_space:  global
        .offset:         16
        .size:           8
        .value_kind:     global_buffer
      - .actual_access:  read_only
        .address_space:  global
        .offset:         24
        .size:           8
        .value_kind:     global_buffer
      - .actual_access:  read_only
        .address_space:  global
        .offset:         32
        .size:           8
        .value_kind:     global_buffer
      - .offset:         40
        .size:           8
        .value_kind:     by_value
      - .address_space:  global
        .offset:         48
        .size:           8
        .value_kind:     global_buffer
      - .address_space:  global
        .offset:         56
        .size:           8
        .value_kind:     global_buffer
      - .address_space:  global
        .offset:         64
        .size:           8
        .value_kind:     global_buffer
      - .address_space:  global
        .offset:         72
        .size:           8
        .value_kind:     global_buffer
      - .offset:         80
        .size:           4
        .value_kind:     by_value
      - .address_space:  global
        .offset:         88
        .size:           8
        .value_kind:     global_buffer
      - .address_space:  global
        .offset:         96
        .size:           8
        .value_kind:     global_buffer
    .group_segment_fixed_size: 50000
    .kernarg_segment_align: 8
    .kernarg_segment_size: 104
    .language:       OpenCL C
    .language_version:
      - 2
      - 0
    .max_flat_workgroup_size: 125
    .name:           bluestein_single_back_len3125_dim1_dp_op_CI_CI
    .private_segment_fixed_size: 1220
    .sgpr_count:     26
    .sgpr_spill_count: 0
    .symbol:         bluestein_single_back_len3125_dim1_dp_op_CI_CI.kd
    .uniform_work_group_size: 1
    .uses_dynamic_stack: false
    .vgpr_count:     256
    .vgpr_spill_count: 304
    .wavefront_size: 32
    .workgroup_processor_mode: 1
amdhsa.target:   amdgcn-amd-amdhsa--gfx1030
amdhsa.version:
  - 1
  - 2
...

	.end_amdgpu_metadata
